;; amdgpu-corpus repo=zjin-lcf/HeCBench kind=compiled arch=gfx1100 opt=O3
	.text
	.amdgcn_target "amdgcn-amd-amdhsa--gfx1100"
	.amdhsa_code_object_version 6
	.section	.text._Z24reshape_and_cache_kernelIfhL18Fp8KVCacheDataType1EEvPKT_S3_PT0_S5_PKliiiiiiff,"axG",@progbits,_Z24reshape_and_cache_kernelIfhL18Fp8KVCacheDataType1EEvPKT_S3_PT0_S5_PKliiiiiiff,comdat
	.protected	_Z24reshape_and_cache_kernelIfhL18Fp8KVCacheDataType1EEvPKT_S3_PT0_S5_PKliiiiiiff ; -- Begin function _Z24reshape_and_cache_kernelIfhL18Fp8KVCacheDataType1EEvPKT_S3_PT0_S5_PKliiiiiiff
	.globl	_Z24reshape_and_cache_kernelIfhL18Fp8KVCacheDataType1EEvPKT_S3_PT0_S5_PKliiiiiiff
	.p2align	8
	.type	_Z24reshape_and_cache_kernelIfhL18Fp8KVCacheDataType1EEvPKT_S3_PT0_S5_PKliiiiiiff,@function
_Z24reshape_and_cache_kernelIfhL18Fp8KVCacheDataType1EEvPKT_S3_PT0_S5_PKliiiiiiff: ; @_Z24reshape_and_cache_kernelIfhL18Fp8KVCacheDataType1EEvPKT_S3_PT0_S5_PKliiiiiiff
; %bb.0:
	s_load_b64 s[2:3], s[0:1], 0x20
	s_mov_b32 s20, s15
	s_mov_b32 s21, 0
	s_delay_alu instid0(SALU_CYCLE_1)
	s_lshl_b64 s[4:5], s[20:21], 3
	s_waitcnt lgkmcnt(0)
	s_add_u32 s2, s2, s4
	s_addc_u32 s3, s3, s5
	s_load_b64 s[2:3], s[2:3], 0x0
	s_waitcnt lgkmcnt(0)
	v_cmp_lt_i64_e64 s4, s[2:3], 0
	s_delay_alu instid0(VALU_DEP_1)
	s_and_b32 vcc_lo, exec_lo, s4
	s_cbranch_vccnz .LBB0_141
; %bb.1:
	s_load_b256 s[4:11], s[0:1], 0x28
	s_waitcnt lgkmcnt(0)
	s_ashr_i32 s23, s8, 31
	s_mov_b32 s22, s8
	s_delay_alu instid0(SALU_CYCLE_1) | instskip(SKIP_1) | instid1(SALU_CYCLE_1)
	s_or_b64 s[12:13], s[2:3], s[22:23]
	s_mov_b32 s12, s21
	s_cmp_lg_u64 s[12:13], 0
	s_cbranch_scc0 .LBB0_142
; %bb.2:
	s_add_u32 s14, s22, s23
	s_mov_b32 s12, s23
	s_mov_b32 s13, s23
	s_addc_u32 s15, s23, s23
	s_delay_alu instid0(SALU_CYCLE_1) | instskip(NEXT) | instid1(SALU_CYCLE_1)
	s_xor_b64 s[14:15], s[14:15], s[12:13]
	v_cvt_f32_u32_e32 v1, s14
	v_cvt_f32_u32_e32 v2, s15
	s_sub_u32 s18, 0, s14
	s_subb_u32 s19, 0, s15
	s_delay_alu instid0(VALU_DEP_1) | instskip(NEXT) | instid1(VALU_DEP_1)
	v_fmamk_f32 v1, v2, 0x4f800000, v1
	v_rcp_f32_e32 v1, v1
	s_waitcnt_depctr 0xfff
	v_mul_f32_e32 v1, 0x5f7ffffc, v1
	s_delay_alu instid0(VALU_DEP_1) | instskip(NEXT) | instid1(VALU_DEP_1)
	v_mul_f32_e32 v2, 0x2f800000, v1
	v_trunc_f32_e32 v2, v2
	s_delay_alu instid0(VALU_DEP_1) | instskip(SKIP_1) | instid1(VALU_DEP_2)
	v_fmamk_f32 v1, v2, 0xcf800000, v1
	v_cvt_u32_f32_e32 v2, v2
	v_cvt_u32_f32_e32 v1, v1
	s_delay_alu instid0(VALU_DEP_2) | instskip(NEXT) | instid1(VALU_DEP_2)
	v_readfirstlane_b32 s16, v2
	v_readfirstlane_b32 s17, v1
	s_delay_alu instid0(VALU_DEP_2) | instskip(NEXT) | instid1(VALU_DEP_1)
	s_mul_i32 s21, s18, s16
	s_mul_hi_u32 s25, s18, s17
	s_mul_i32 s24, s19, s17
	s_add_i32 s21, s25, s21
	s_mul_i32 s26, s18, s17
	s_add_i32 s21, s21, s24
	s_mul_hi_u32 s25, s17, s26
	s_mul_hi_u32 s27, s16, s26
	s_mul_i32 s24, s16, s26
	s_mul_hi_u32 s26, s17, s21
	s_mul_i32 s17, s17, s21
	s_mul_hi_u32 s28, s16, s21
	s_add_u32 s17, s25, s17
	s_addc_u32 s25, 0, s26
	s_add_u32 s17, s17, s24
	s_mul_i32 s21, s16, s21
	s_addc_u32 s17, s25, s27
	s_addc_u32 s24, s28, 0
	s_add_u32 s17, s17, s21
	s_addc_u32 s21, 0, s24
	v_add_co_u32 v1, s17, v1, s17
	s_delay_alu instid0(VALU_DEP_1) | instskip(SKIP_1) | instid1(VALU_DEP_1)
	s_cmp_lg_u32 s17, 0
	s_addc_u32 s16, s16, s21
	v_readfirstlane_b32 s17, v1
	s_mul_i32 s21, s18, s16
	s_delay_alu instid0(VALU_DEP_1)
	s_mul_hi_u32 s24, s18, s17
	s_mul_i32 s19, s19, s17
	s_add_i32 s21, s24, s21
	s_mul_i32 s18, s18, s17
	s_add_i32 s21, s21, s19
	s_mul_hi_u32 s24, s16, s18
	s_mul_i32 s25, s16, s18
	s_mul_hi_u32 s18, s17, s18
	s_mul_hi_u32 s26, s17, s21
	s_mul_i32 s17, s17, s21
	s_mul_hi_u32 s19, s16, s21
	s_add_u32 s17, s18, s17
	s_addc_u32 s18, 0, s26
	s_add_u32 s17, s17, s25
	s_mul_i32 s21, s16, s21
	s_addc_u32 s17, s18, s24
	s_addc_u32 s18, s19, 0
	s_add_u32 s17, s17, s21
	s_addc_u32 s18, 0, s18
	v_add_co_u32 v1, s17, v1, s17
	s_delay_alu instid0(VALU_DEP_1) | instskip(SKIP_2) | instid1(VALU_DEP_1)
	s_cmp_lg_u32 s17, 0
	s_addc_u32 s21, s16, s18
	s_ashr_i32 s16, s3, 31
	v_readfirstlane_b32 s24, v1
	s_add_u32 s18, s2, s16
	s_mov_b32 s17, s16
	s_addc_u32 s19, s3, s16
	s_delay_alu instid0(SALU_CYCLE_1) | instskip(NEXT) | instid1(SALU_CYCLE_1)
	s_xor_b64 s[18:19], s[18:19], s[16:17]
	s_mul_i32 s26, s18, s21
	s_mul_hi_u32 s27, s18, s24
	s_mul_hi_u32 s25, s18, s21
	;; [unrolled: 1-line block ×3, first 2 shown]
	s_mul_i32 s24, s19, s24
	s_add_u32 s26, s27, s26
	s_addc_u32 s25, 0, s25
	s_mul_hi_u32 s28, s19, s21
	s_add_u32 s24, s26, s24
	s_mul_i32 s21, s19, s21
	s_addc_u32 s24, s25, s29
	s_addc_u32 s25, s28, 0
	s_add_u32 s21, s24, s21
	s_addc_u32 s24, 0, s25
	s_mul_i32 s28, s14, s21
	s_mul_hi_u32 s25, s14, s21
	s_mul_i32 s27, s14, s24
	v_sub_co_u32 v1, s18, s18, s28
	s_mul_i32 s26, s15, s21
	s_add_i32 s25, s25, s27
	s_delay_alu instid0(SALU_CYCLE_1) | instskip(NEXT) | instid1(VALU_DEP_1)
	s_add_i32 s25, s25, s26
	v_sub_co_u32 v2, s27, v1, s14
	s_sub_i32 s26, s19, s25
	s_cmp_lg_u32 s18, 0
	s_subb_u32 s26, s26, s15
	s_cmp_lg_u32 s27, 0
	v_readfirstlane_b32 s27, v2
	s_subb_u32 s26, s26, 0
	s_delay_alu instid0(SALU_CYCLE_1) | instskip(SKIP_1) | instid1(VALU_DEP_1)
	s_cmp_ge_u32 s26, s15
	s_cselect_b32 s28, -1, 0
	s_cmp_ge_u32 s27, s14
	s_cselect_b32 s27, -1, 0
	s_cmp_eq_u32 s26, s15
	s_cselect_b32 s26, s27, s28
	s_add_u32 s27, s21, 1
	s_addc_u32 s28, s24, 0
	s_add_u32 s29, s21, 2
	s_addc_u32 s30, s24, 0
	s_cmp_lg_u32 s26, 0
	s_cselect_b32 s26, s29, s27
	s_cselect_b32 s27, s30, s28
	s_cmp_lg_u32 s18, 0
	v_readfirstlane_b32 s18, v1
	s_subb_u32 s19, s19, s25
	s_delay_alu instid0(SALU_CYCLE_1) | instskip(SKIP_1) | instid1(VALU_DEP_1)
	s_cmp_ge_u32 s19, s15
	s_cselect_b32 s25, -1, 0
	s_cmp_ge_u32 s18, s14
	s_cselect_b32 s14, -1, 0
	s_cmp_eq_u32 s19, s15
	s_cselect_b32 s14, s14, s25
	s_delay_alu instid0(SALU_CYCLE_1) | instskip(SKIP_3) | instid1(SALU_CYCLE_1)
	s_cmp_lg_u32 s14, 0
	s_cselect_b32 s15, s27, s24
	s_cselect_b32 s14, s26, s21
	s_xor_b64 s[16:17], s[16:17], s[12:13]
	s_xor_b64 s[14:15], s[14:15], s[16:17]
	s_delay_alu instid0(SALU_CYCLE_1)
	s_sub_u32 s24, s14, s16
	s_subb_u32 s25, s15, s17
	s_cbranch_execnz .LBB0_4
.LBB0_3:
	v_cvt_f32_u32_e32 v1, s22
	s_sub_i32 s13, 0, s22
	s_mov_b32 s25, 0
	s_delay_alu instid0(VALU_DEP_1) | instskip(SKIP_2) | instid1(VALU_DEP_1)
	v_rcp_iflag_f32_e32 v1, v1
	s_waitcnt_depctr 0xfff
	v_mul_f32_e32 v1, 0x4f7ffffe, v1
	v_cvt_u32_f32_e32 v1, v1
	s_delay_alu instid0(VALU_DEP_1) | instskip(NEXT) | instid1(VALU_DEP_1)
	v_readfirstlane_b32 s12, v1
	s_mul_i32 s13, s13, s12
	s_delay_alu instid0(SALU_CYCLE_1) | instskip(NEXT) | instid1(SALU_CYCLE_1)
	s_mul_hi_u32 s13, s12, s13
	s_add_i32 s12, s12, s13
	s_delay_alu instid0(SALU_CYCLE_1) | instskip(NEXT) | instid1(SALU_CYCLE_1)
	s_mul_hi_u32 s12, s2, s12
	s_mul_i32 s13, s12, s22
	s_add_i32 s14, s12, 1
	s_sub_i32 s13, s2, s13
	s_delay_alu instid0(SALU_CYCLE_1)
	s_sub_i32 s15, s13, s22
	s_cmp_ge_u32 s13, s22
	s_cselect_b32 s12, s14, s12
	s_cselect_b32 s13, s15, s13
	s_add_i32 s14, s12, 1
	s_cmp_ge_u32 s13, s22
	s_cselect_b32 s24, s14, s12
.LBB0_4:
	s_abs_i32 s12, s9
	s_abs_i32 s15, s7
	v_cvt_f32_u32_e32 v1, s12
	s_sub_i32 s14, 0, s12
	s_mov_b32 s27, 0
	s_delay_alu instid0(VALU_DEP_1) | instskip(SKIP_2) | instid1(VALU_DEP_1)
	v_rcp_iflag_f32_e32 v1, v1
	s_waitcnt_depctr 0xfff
	v_mul_f32_e32 v1, 0x4f7ffffe, v1
	v_cvt_u32_f32_e32 v1, v1
	s_delay_alu instid0(VALU_DEP_1) | instskip(NEXT) | instid1(VALU_DEP_1)
	v_readfirstlane_b32 s13, v1
	s_mul_i32 s14, s14, s13
	s_delay_alu instid0(SALU_CYCLE_1) | instskip(NEXT) | instid1(SALU_CYCLE_1)
	s_mul_hi_u32 s14, s13, s14
	s_add_i32 s13, s13, s14
	s_xor_b32 s14, s7, s9
	s_mul_hi_u32 s13, s15, s13
	s_ashr_i32 s14, s14, 31
	s_mul_i32 s16, s13, s12
	s_delay_alu instid0(SALU_CYCLE_1)
	s_sub_i32 s15, s15, s16
	s_add_i32 s16, s13, 1
	s_sub_i32 s17, s15, s12
	s_cmp_ge_u32 s15, s12
	s_cselect_b32 s13, s16, s13
	s_cselect_b32 s15, s17, s15
	s_add_i32 s16, s13, 1
	s_cmp_ge_u32 s15, s12
	s_cselect_b32 s12, s16, s13
	s_delay_alu instid0(SALU_CYCLE_1) | instskip(NEXT) | instid1(SALU_CYCLE_1)
	s_xor_b32 s12, s12, s14
	s_sub_i32 s21, s12, s14
	s_mov_b32 s12, exec_lo
	s_mul_i32 s26, s21, s6
	s_delay_alu instid0(SALU_CYCLE_1)
	v_cmpx_gt_i32_e64 s26, v0
	s_cbranch_execz .LBB0_141
; %bb.5:
	s_load_b256 s[12:19], s[0:1], 0x0
	s_mul_i32 s23, s24, s23
	s_mul_hi_u32 s28, s24, s22
	s_mul_i32 s29, s25, s22
	s_add_i32 s23, s28, s23
	s_mul_i32 s33, s24, s22
	s_add_i32 s29, s23, s29
	s_sub_u32 s23, s2, s33
	s_mul_hi_u32 s31, s4, s20
	s_mul_i32 s30, s4, s20
	s_subb_u32 s28, s3, s29
	s_ashr_i32 s4, s4, 31
	s_mul_i32 s25, s26, s25
	s_mul_i32 s4, s4, s20
	s_mul_hi_u32 s35, s26, s24
	s_add_i32 s31, s31, s4
	s_mul_hi_i32 s36, s6, s21
	s_lshl_b64 s[30:31], s[30:31], 2
	s_mul_hi_u32 s34, s5, s20
	s_load_b32 s0, s[0:1], 0x54
	s_waitcnt lgkmcnt(0)
	s_add_u32 s4, s12, s30
	s_addc_u32 s6, s13, s31
	s_ashr_i32 s12, s5, 31
	s_mul_i32 s13, s36, s24
	s_add_i32 s30, s35, s25
	s_mul_i32 s12, s12, s20
	s_add_i32 s30, s30, s13
	s_mul_i32 s13, s26, s24
	s_mul_i32 s31, s9, s22
	s_add_i32 s25, s34, s12
	s_mul_hi_u32 s12, s31, s13
	s_mul_i32 s24, s31, s30
	s_mul_hi_i32 s22, s9, s22
	s_add_i32 s12, s12, s24
	s_mul_i32 s22, s22, s13
	s_and_b32 s24, s9, 3
	s_ashr_i32 s34, s9, 31
	s_add_i32 s22, s12, s22
	s_cmp_eq_u32 s24, 0
	s_mul_i32 s24, s5, s20
	s_cselect_b32 s30, -1, 0
	s_ashr_i32 s12, s9, 2
	s_mul_i32 s31, s31, s13
	s_cmp_gt_i32 s12, 0
	s_mul_i32 s20, s9, s8
	s_cselect_b32 s5, -1, 0
	s_lshl_b64 s[24:25], s[24:25], 2
	v_mov_b32_e32 v6, 0
	s_add_u32 s13, s14, s24
	s_addc_u32 s14, s15, s25
	s_add_u32 s15, s18, s31
	s_addc_u32 s18, s19, s22
	s_cmp_gt_i32 s9, 0
	s_cselect_b32 s19, -1, 0
	s_abs_i32 s1, s21
	s_and_b32 s22, s0, 0xffff
	v_cvt_f32_u32_e32 v1, s1
	s_sub_i32 s0, 0, s1
	s_ashr_i32 s24, s21, 31
	s_add_u32 s25, s26, -1
	s_addc_u32 s31, s36, -1
	v_rcp_iflag_f32_e32 v1, v1
	s_mul_hi_u32 s35, s33, s25
	s_mul_i32 s29, s29, s25
	s_waitcnt_depctr 0xfff
	v_mul_f32_e32 v1, 0x4f7ffffe, v1
	s_delay_alu instid0(VALU_DEP_1) | instskip(NEXT) | instid1(VALU_DEP_1)
	v_cvt_u32_f32_e32 v1, v1
	v_mul_lo_u32 v2, s0, v1
	s_mul_i32 s0, s33, s31
	s_mul_i32 s33, s33, s25
	s_add_i32 s0, s35, s0
	s_delay_alu instid0(SALU_CYCLE_1) | instskip(SKIP_2) | instid1(VALU_DEP_1)
	s_add_i32 s0, s0, s29
	s_add_u32 s2, s2, s33
	s_addc_u32 s0, s3, s0
	v_mul_hi_u32 v2, v1, v2
	s_mul_i32 s3, s2, s34
	s_mul_hi_u32 s25, s2, s9
	s_mul_i32 s0, s0, s9
	s_add_i32 s3, s25, s3
	s_mul_i32 s2, s2, s9
	s_add_i32 s3, s3, s0
	s_add_u32 s2, s16, s2
	v_add_nc_u32_e32 v22, v1, v2
	s_addc_u32 s3, s17, s3
	s_add_u32 s16, s4, 8
	s_addc_u32 s17, s6, 0
	s_xor_b32 s25, s30, -1
	s_branch .LBB0_7
.LBB0_6:                                ;   in Loop: Header=BB0_7 Depth=1
	v_add_nc_u32_e32 v0, s22, v0
	s_delay_alu instid0(VALU_DEP_1) | instskip(SKIP_1) | instid1(SALU_CYCLE_1)
	v_cmp_le_i32_e32 vcc_lo, s26, v0
	s_or_b32 s27, vcc_lo, s27
	s_and_not1_b32 exec_lo, exec_lo, s27
	s_cbranch_execz .LBB0_141
.LBB0_7:                                ; =>This Loop Header: Depth=1
                                        ;     Child Loop BB0_14 Depth 2
                                        ;     Child Loop BB0_28 Depth 2
	;; [unrolled: 1-line block ×5, first 2 shown]
	v_sub_nc_u32_e32 v1, 0, v0
	s_delay_alu instid0(VALU_DEP_1) | instskip(NEXT) | instid1(VALU_DEP_1)
	v_max_i32_e32 v1, v0, v1
	v_mul_hi_u32 v2, v1, v22
	s_delay_alu instid0(VALU_DEP_1) | instskip(NEXT) | instid1(VALU_DEP_1)
	v_mul_lo_u32 v3, v2, s1
	v_sub_nc_u32_e32 v1, v1, v3
	v_add_nc_u32_e32 v3, 1, v2
	s_delay_alu instid0(VALU_DEP_2) | instskip(SKIP_1) | instid1(VALU_DEP_2)
	v_subrev_nc_u32_e32 v4, s1, v1
	v_cmp_le_u32_e32 vcc_lo, s1, v1
	v_dual_cndmask_b32 v2, v2, v3 :: v_dual_cndmask_b32 v1, v1, v4
	v_ashrrev_i32_e32 v3, 31, v0
	s_delay_alu instid0(VALU_DEP_2) | instskip(NEXT) | instid1(VALU_DEP_3)
	v_add_nc_u32_e32 v4, 1, v2
	v_cmp_le_u32_e32 vcc_lo, s1, v1
	s_delay_alu instid0(VALU_DEP_3) | instskip(NEXT) | instid1(VALU_DEP_3)
	v_xor_b32_e32 v3, s24, v3
	v_cndmask_b32_e32 v1, v2, v4, vcc_lo
	s_delay_alu instid0(VALU_DEP_1) | instskip(NEXT) | instid1(VALU_DEP_1)
	v_xor_b32_e32 v1, v1, v3
	v_sub_nc_u32_e32 v1, v1, v3
	s_delay_alu instid0(VALU_DEP_1) | instskip(SKIP_1) | instid1(VALU_DEP_2)
	v_mul_lo_u32 v3, v1, s21
	v_mul_lo_u32 v1, v1, s7
	v_sub_nc_u32_e32 v4, v0, v3
	s_delay_alu instid0(VALU_DEP_2) | instskip(SKIP_1) | instid1(VALU_DEP_3)
	v_ashrrev_i32_e32 v2, 31, v1
	v_mul_lo_u32 v23, v3, s20
	v_mul_lo_u32 v11, v4, s9
	s_delay_alu instid0(VALU_DEP_3) | instskip(SKIP_1) | instid1(VALU_DEP_4)
	v_lshlrev_b64 v[9:10], 2, v[1:2]
	v_mul_lo_u32 v25, s20, v4
	v_ashrrev_i32_e32 v24, 31, v23
	s_delay_alu instid0(VALU_DEP_3) | instskip(SKIP_3) | instid1(VALU_DEP_3)
	v_add_co_u32 v1, vcc_lo, s4, v9
	v_ashrrev_i32_e32 v12, 31, v11
	v_add_co_ci_u32_e32 v2, vcc_lo, s6, v10, vcc_lo
	v_ashrrev_i32_e32 v26, 31, v25
	v_lshlrev_b64 v[7:8], 2, v[11:12]
	s_delay_alu instid0(VALU_DEP_1) | instskip(NEXT) | instid1(VALU_DEP_2)
	v_add_co_u32 v1, vcc_lo, v1, v7
	v_add_co_ci_u32_e32 v2, vcc_lo, v2, v8, vcc_lo
	s_delay_alu instid0(VALU_DEP_2) | instskip(NEXT) | instid1(VALU_DEP_1)
	v_and_b32_e32 v5, 15, v1
	v_cmp_ne_u64_e32 vcc_lo, 0, v[5:6]
	s_or_b32 s0, s25, vcc_lo
	s_delay_alu instid0(SALU_CYCLE_1) | instskip(NEXT) | instid1(SALU_CYCLE_1)
	s_and_saveexec_b32 s29, s0
	s_xor_b32 s29, exec_lo, s29
	s_cbranch_execz .LBB0_82
; %bb.8:                                ;   in Loop: Header=BB0_7 Depth=1
	v_sub_nc_u32_e32 v3, 0, v1
	s_mov_b32 s30, exec_lo
	s_delay_alu instid0(VALU_DEP_1) | instskip(NEXT) | instid1(VALU_DEP_1)
	v_bfe_u32 v3, v3, 2, 2
	v_min_i32_e32 v12, s9, v3
	s_delay_alu instid0(VALU_DEP_1)
	v_cmpx_lt_i32_e32 0, v12
	s_cbranch_execz .LBB0_23
; %bb.9:                                ;   in Loop: Header=BB0_7 Depth=1
	v_add_co_u32 v3, vcc_lo, v23, v25
	v_add_co_ci_u32_e32 v4, vcc_lo, v24, v26, vcc_lo
	v_dual_mov_b32 v14, v2 :: v_dual_mov_b32 v13, v1
	s_delay_alu instid0(VALU_DEP_3) | instskip(NEXT) | instid1(VALU_DEP_3)
	v_add_co_u32 v3, vcc_lo, s2, v3
	v_add_co_ci_u32_e32 v4, vcc_lo, s3, v4, vcc_lo
	v_mov_b32_e32 v19, v12
	s_mov_b32 s31, 0
	s_branch .LBB0_14
.LBB0_10:                               ;   in Loop: Header=BB0_14 Depth=2
	s_or_b32 exec_lo, exec_lo, s0
	s_delay_alu instid0(VALU_DEP_1) | instskip(NEXT) | instid1(VALU_DEP_2)
	v_lshrrev_b64 v[15:16], 20, v[15:16]
	v_cmp_gt_i32_e32 vcc_lo, 16, v5
	v_and_b32_e32 v17, 0x80, v20
	v_min_i32_e32 v18, 15, v5
	v_cmp_eq_u32_e64 s0, 0, v5
	v_dual_cndmask_b32 v16, 0, v16 :: v_dual_cndmask_b32 v15, 7, v15
	s_delay_alu instid0(VALU_DEP_3) | instskip(NEXT) | instid1(VALU_DEP_2)
	v_lshl_or_b32 v17, v18, 3, v17
	v_cmp_eq_u64_e32 vcc_lo, 0, v[15:16]
	s_delay_alu instid0(VALU_DEP_2)
	v_and_or_b32 v5, v15, 7, v17
	s_and_b32 s0, s0, vcc_lo
	s_delay_alu instid0(VALU_DEP_1) | instid1(SALU_CYCLE_1)
	v_cndmask_b32_e64 v15, v5, 0, s0
.LBB0_11:                               ;   in Loop: Header=BB0_14 Depth=2
	s_or_b32 exec_lo, exec_lo, s35
.LBB0_12:                               ;   in Loop: Header=BB0_14 Depth=2
	s_and_not1_saveexec_b32 s0, s34
	s_delay_alu instid0(SALU_CYCLE_1)
	s_or_b32 exec_lo, exec_lo, s0
.LBB0_13:                               ;   in Loop: Header=BB0_14 Depth=2
	s_and_not1_saveexec_b32 s0, s33
	s_delay_alu instid0(SALU_CYCLE_1)
	s_or_b32 exec_lo, exec_lo, s0
	v_add_nc_u32_e32 v19, -1, v19
	v_add_co_u32 v13, vcc_lo, v13, 4
	v_add_co_ci_u32_e32 v14, vcc_lo, 0, v14, vcc_lo
	global_store_b8 v[3:4], v15, off
	v_cmp_eq_u32_e32 vcc_lo, 0, v19
	v_add_co_u32 v3, s0, v3, 1
	s_delay_alu instid0(VALU_DEP_1) | instskip(SKIP_1) | instid1(SALU_CYCLE_1)
	v_add_co_ci_u32_e64 v4, s0, 0, v4, s0
	s_or_b32 s31, vcc_lo, s31
	s_and_not1_b32 exec_lo, exec_lo, s31
	s_cbranch_execz .LBB0_23
.LBB0_14:                               ;   Parent Loop BB0_7 Depth=1
                                        ; =>  This Inner Loop Header: Depth=2
	global_load_b32 v5, v[13:14], off
	s_mov_b32 s0, exec_lo
	s_waitcnt vmcnt(0)
	v_div_scale_f32 v15, null, s10, s10, v5
	s_delay_alu instid0(VALU_DEP_1) | instskip(SKIP_2) | instid1(VALU_DEP_1)
	v_rcp_f32_e32 v16, v15
	s_waitcnt_depctr 0xfff
	v_fma_f32 v17, -v15, v16, 1.0
	v_fmac_f32_e32 v16, v17, v16
	v_div_scale_f32 v17, vcc_lo, v5, s10, v5
	s_delay_alu instid0(VALU_DEP_1) | instskip(NEXT) | instid1(VALU_DEP_1)
	v_mul_f32_e32 v18, v17, v16
	v_fma_f32 v20, -v15, v18, v17
	s_delay_alu instid0(VALU_DEP_1) | instskip(NEXT) | instid1(VALU_DEP_1)
	v_fmac_f32_e32 v18, v20, v16
	v_fma_f32 v15, -v15, v18, v17
	s_delay_alu instid0(VALU_DEP_1) | instskip(NEXT) | instid1(VALU_DEP_1)
	v_div_fmas_f32 v15, v15, v16, v18
	v_div_fixup_f32 v16, v15, s10, v5
	s_delay_alu instid0(VALU_DEP_1) | instskip(SKIP_1) | instid1(VALU_DEP_2)
	v_lshrrev_b32_e32 v20, 24, v16
	v_and_b32_e32 v5, 0x7f800000, v16
	v_or_b32_e32 v15, 0x7f, v20
	s_delay_alu instid0(VALU_DEP_2)
	v_cmpx_ne_u64_e32 0x7f800000, v[5:6]
	s_xor_b32 s33, exec_lo, s0
	s_cbranch_execz .LBB0_13
; %bb.15:                               ;   in Loop: Header=BB0_14 Depth=2
	v_and_b32_e32 v5, 0x7fffffff, v16
	s_mov_b32 s0, exec_lo
	s_delay_alu instid0(VALU_DEP_1)
	v_cmpx_gt_u64_e32 0x43700001, v[5:6]
	s_xor_b32 s34, exec_lo, s0
	s_cbranch_execz .LBB0_12
; %bb.16:                               ;   in Loop: Header=BB0_14 Depth=2
	v_mov_b32_e32 v15, 0
	s_mov_b32 s35, exec_lo
	v_cmpx_ne_u32_e32 0, v16
	s_cbranch_execz .LBB0_11
; %bb.17:                               ;   in Loop: Header=BB0_14 Depth=2
	v_bfe_u32 v21, v16, 23, 8
	v_mov_b32_e32 v18, v6
	s_delay_alu instid0(VALU_DEP_2) | instskip(SKIP_1) | instid1(VALU_DEP_2)
	v_sub_nc_u32_e32 v5, 0x78, v21
	v_cmp_gt_u32_e32 vcc_lo, 0x79, v21
	v_cndmask_b32_e32 v5, 0, v5, vcc_lo
	v_cmp_eq_u32_e32 vcc_lo, 0, v21
	s_delay_alu instid0(VALU_DEP_2) | instskip(SKIP_1) | instid1(VALU_DEP_2)
	v_cndmask_b32_e64 v27, v5, 0x77, vcc_lo
	v_and_b32_e32 v5, 0x7fffff, v16
	v_add_nc_u32_e32 v15, 20, v27
	s_delay_alu instid0(VALU_DEP_2) | instskip(NEXT) | instid1(VALU_DEP_2)
	v_or_b32_e32 v17, 0x800000, v5
	v_lshlrev_b64 v[15:16], v15, -1
	s_delay_alu instid0(VALU_DEP_2) | instskip(NEXT) | instid1(VALU_DEP_2)
	v_dual_cndmask_b32 v5, v17, v5 :: v_dual_add_nc_u32 v16, 19, v27
	v_not_b32_e32 v15, v15
	s_delay_alu instid0(VALU_DEP_2) | instskip(NEXT) | instid1(VALU_DEP_2)
	v_lshlrev_b64 v[28:29], v16, 1
	v_and_b32_e32 v17, v5, v15
	v_lshrrev_b64 v[15:16], v27, v[5:6]
	s_delay_alu instid0(VALU_DEP_2) | instskip(NEXT) | instid1(VALU_DEP_2)
	v_cmp_eq_u64_e64 s0, v[17:18], v[28:29]
	v_dual_mov_b32 v18, v16 :: v_dual_mov_b32 v17, v15
	s_delay_alu instid0(VALU_DEP_2)
	s_and_saveexec_b32 s36, s0
; %bb.18:                               ;   in Loop: Header=BB0_14 Depth=2
	v_bfe_u32 v5, v15, 20, 1
	s_delay_alu instid0(VALU_DEP_1) | instskip(NEXT) | instid1(VALU_DEP_1)
	v_add_co_u32 v5, s0, v15, v5
	v_add_co_u32 v17, s0, v5, -1
; %bb.19:                               ;   in Loop: Header=BB0_14 Depth=2
	s_or_b32 exec_lo, exec_lo, s36
	v_add_nc_u32_e32 v5, 0xffffff81, v21
	v_lshrrev_b32_e32 v18, 23, v15
	s_mov_b32 s0, exec_lo
	s_delay_alu instid0(VALU_DEP_2) | instskip(NEXT) | instid1(VALU_DEP_1)
	v_cndmask_b32_e64 v5, v5, 0xffffff82, vcc_lo
	v_add3_u32 v18, v27, v5, v18
	v_and_b32_e32 v5, 0xfffff, v17
	s_delay_alu instid0(VALU_DEP_2) | instskip(NEXT) | instid1(VALU_DEP_2)
	v_add_nc_u32_e32 v17, 7, v18
	v_add_co_u32 v15, vcc_lo, v5, v15
	v_add_co_ci_u32_e32 v16, vcc_lo, 0, v16, vcc_lo
                                        ; implicit-def: $vgpr5
	s_delay_alu instid0(VALU_DEP_3)
	v_cmpx_ne_u32_e32 0, v17
	s_xor_b32 s0, exec_lo, s0
; %bb.20:                               ;   in Loop: Header=BB0_14 Depth=2
	s_delay_alu instid0(VALU_DEP_2) | instskip(SKIP_1) | instid1(VALU_DEP_1)
	v_cmp_lt_u64_e32 vcc_lo, 0xffffff, v[15:16]
	v_add_nc_u32_e32 v5, 8, v18
	v_cndmask_b32_e32 v5, v17, v5, vcc_lo
	v_cndmask_b32_e64 v17, 0, 1, vcc_lo
	s_delay_alu instid0(VALU_DEP_1)
	v_lshrrev_b64 v[15:16], v17, v[15:16]
; %bb.21:                               ;   in Loop: Header=BB0_14 Depth=2
	s_and_not1_saveexec_b32 s0, s0
	s_cbranch_execz .LBB0_10
; %bb.22:                               ;   in Loop: Header=BB0_14 Depth=2
	s_delay_alu instid0(VALU_DEP_1)
	v_bfe_u32 v5, v15, 23, 1
	s_branch .LBB0_10
.LBB0_23:                               ;   in Loop: Header=BB0_7 Depth=1
	s_or_b32 exec_lo, exec_lo, s30
	v_sub_nc_u32_e32 v27, s9, v12
	v_ashrrev_i32_e32 v13, 31, v12
	s_mov_b32 s30, exec_lo
	s_delay_alu instid0(VALU_DEP_2) | instskip(NEXT) | instid1(VALU_DEP_1)
	v_ashrrev_i32_e32 v3, 31, v27
	v_lshrrev_b32_e32 v3, 30, v3
	s_delay_alu instid0(VALU_DEP_1) | instskip(NEXT) | instid1(VALU_DEP_1)
	v_add_nc_u32_e32 v3, v27, v3
	v_ashrrev_i32_e32 v28, 2, v3
	v_cmpx_lt_i32_e32 3, v27
	s_cbranch_execz .LBB0_66
; %bb.24:                               ;   in Loop: Header=BB0_7 Depth=1
	v_add_co_u32 v5, vcc_lo, v12, v23
	v_add_co_ci_u32_e32 v14, vcc_lo, v13, v24, vcc_lo
	v_lshlrev_b64 v[3:4], 2, v[12:13]
	s_delay_alu instid0(VALU_DEP_3) | instskip(NEXT) | instid1(VALU_DEP_3)
	v_add_co_u32 v5, vcc_lo, v5, v25
	v_add_co_ci_u32_e32 v17, vcc_lo, v14, v26, vcc_lo
	v_mov_b32_e32 v29, v28
	s_delay_alu instid0(VALU_DEP_4)
	v_add_co_u32 v14, vcc_lo, v1, v3
	v_add_co_ci_u32_e32 v15, vcc_lo, v2, v4, vcc_lo
	v_add_co_u32 v16, vcc_lo, s2, v5
	v_add_co_ci_u32_e32 v17, vcc_lo, s3, v17, vcc_lo
	s_mov_b32 s31, 0
	s_branch .LBB0_28
.LBB0_25:                               ;   in Loop: Header=BB0_28 Depth=2
	s_or_b32 exec_lo, exec_lo, s0
	s_delay_alu instid0(VALU_DEP_1) | instskip(NEXT) | instid1(VALU_DEP_2)
	v_lshrrev_b64 v[1:2], 20, v[1:2]
	v_cmp_gt_i32_e32 vcc_lo, 16, v3
	v_min_i32_e32 v4, 15, v3
	v_and_b32_e32 v5, 0x80, v19
	v_cmp_eq_u32_e64 s0, 0, v3
	v_dual_cndmask_b32 v2, 0, v2 :: v_dual_cndmask_b32 v1, 7, v1
	s_delay_alu instid0(VALU_DEP_4) | instskip(NEXT) | instid1(VALU_DEP_2)
	v_lshlrev_b32_e32 v4, 3, v4
	v_and_b32_e32 v19, 7, v1
	s_delay_alu instid0(VALU_DEP_3) | instskip(NEXT) | instid1(VALU_DEP_2)
	v_cmp_eq_u64_e32 vcc_lo, 0, v[1:2]
	v_or3_b32 v1, v4, v5, v19
	s_and_b32 s0, s0, vcc_lo
	s_delay_alu instid0(VALU_DEP_1) | instid1(SALU_CYCLE_1)
	v_cndmask_b32_e64 v2, v1, 0, s0
.LBB0_26:                               ;   in Loop: Header=BB0_28 Depth=2
	s_or_b32 exec_lo, exec_lo, s34
.LBB0_27:                               ;   in Loop: Header=BB0_28 Depth=2
	s_delay_alu instid0(SALU_CYCLE_1) | instskip(SKIP_4) | instid1(VALU_DEP_4)
	s_or_b32 exec_lo, exec_lo, s33
	v_lshlrev_b32_e32 v1, 16, v18
	v_lshlrev_b32_e32 v3, 8, v21
	v_and_b32_e32 v4, 0xff, v20
	v_add_nc_u32_e32 v29, -1, v29
	v_perm_b32 v1, v2, v1, 0x4020c0c
	s_delay_alu instid0(VALU_DEP_4) | instskip(NEXT) | instid1(VALU_DEP_3)
	v_and_b32_e32 v2, 0xff00, v3
	v_cmp_eq_u32_e32 vcc_lo, 0, v29
	s_delay_alu instid0(VALU_DEP_2) | instskip(SKIP_3) | instid1(VALU_DEP_1)
	v_or3_b32 v1, v1, v2, v4
	s_or_b32 s31, vcc_lo, s31
	global_store_b32 v[16:17], v1, off
	v_add_co_u32 v16, s0, v16, 4
	v_add_co_ci_u32_e64 v17, s0, 0, v17, s0
	v_add_co_u32 v14, s0, v14, 16
	s_delay_alu instid0(VALU_DEP_1)
	v_add_co_ci_u32_e64 v15, s0, 0, v15, s0
	s_and_not1_b32 exec_lo, exec_lo, s31
	s_cbranch_execz .LBB0_66
.LBB0_28:                               ;   Parent Loop BB0_7 Depth=1
                                        ; =>  This Inner Loop Header: Depth=2
	global_load_b128 v[1:4], v[14:15], off
	s_waitcnt vmcnt(0)
	v_div_scale_f32 v5, null, s10, s10, v1
	v_div_scale_f32 v20, vcc_lo, v1, s10, v1
	s_delay_alu instid0(VALU_DEP_2) | instskip(SKIP_2) | instid1(VALU_DEP_1)
	v_rcp_f32_e32 v18, v5
	s_waitcnt_depctr 0xfff
	v_fma_f32 v19, -v5, v18, 1.0
	v_fmac_f32_e32 v18, v19, v18
	s_delay_alu instid0(VALU_DEP_1) | instskip(NEXT) | instid1(VALU_DEP_1)
	v_mul_f32_e32 v19, v20, v18
	v_fma_f32 v21, -v5, v19, v20
	s_delay_alu instid0(VALU_DEP_1) | instskip(NEXT) | instid1(VALU_DEP_1)
	v_fmac_f32_e32 v19, v21, v18
	v_fma_f32 v5, -v5, v19, v20
	s_delay_alu instid0(VALU_DEP_1) | instskip(NEXT) | instid1(VALU_DEP_1)
	v_div_fmas_f32 v5, v5, v18, v19
	v_div_fixup_f32 v18, v5, s10, v1
	s_delay_alu instid0(VALU_DEP_1) | instskip(SKIP_1) | instid1(VALU_DEP_2)
	v_and_b32_e32 v5, 0x7f800000, v18
	v_lshrrev_b32_e32 v1, 24, v18
	v_cmp_ne_u64_e32 vcc_lo, 0x7f800000, v[5:6]
	v_and_b32_e32 v5, 0x7fffffff, v18
	s_delay_alu instid0(VALU_DEP_3) | instskip(NEXT) | instid1(VALU_DEP_2)
	v_or_b32_e32 v20, 0x7f, v1
	v_cmp_gt_u64_e64 s0, 0x43700001, v[5:6]
	s_delay_alu instid0(VALU_DEP_1) | instskip(NEXT) | instid1(SALU_CYCLE_1)
	s_and_b32 s0, vcc_lo, s0
	s_and_saveexec_b32 s33, s0
	s_cbranch_execz .LBB0_38
; %bb.29:                               ;   in Loop: Header=BB0_28 Depth=2
	v_mov_b32_e32 v20, 0
	s_mov_b32 s34, exec_lo
	v_cmpx_ne_u32_e32 0, v18
	s_cbranch_execz .LBB0_37
; %bb.30:                               ;   in Loop: Header=BB0_28 Depth=2
	v_bfe_u32 v30, v18, 23, 8
	s_delay_alu instid0(VALU_DEP_1) | instskip(SKIP_1) | instid1(VALU_DEP_2)
	v_sub_nc_u32_e32 v5, 0x78, v30
	v_cmp_gt_u32_e32 vcc_lo, 0x79, v30
	v_cndmask_b32_e32 v5, 0, v5, vcc_lo
	v_cmp_eq_u32_e32 vcc_lo, 0, v30
	s_delay_alu instid0(VALU_DEP_2) | instskip(SKIP_1) | instid1(VALU_DEP_2)
	v_cndmask_b32_e64 v31, v5, 0x77, vcc_lo
	v_and_b32_e32 v5, 0x7fffff, v18
	v_add_nc_u32_e32 v18, 20, v31
	s_delay_alu instid0(VALU_DEP_2) | instskip(NEXT) | instid1(VALU_DEP_2)
	v_or_b32_e32 v20, 0x800000, v5
	v_lshlrev_b64 v[18:19], v18, -1
	s_delay_alu instid0(VALU_DEP_2) | instskip(SKIP_1) | instid1(VALU_DEP_3)
	v_cndmask_b32_e32 v5, v20, v5, vcc_lo
	v_add_nc_u32_e32 v19, 19, v31
	v_not_b32_e32 v18, v18
	v_mov_b32_e32 v21, v6
	s_delay_alu instid0(VALU_DEP_3) | instskip(NEXT) | instid1(VALU_DEP_3)
	v_lshlrev_b64 v[32:33], v19, 1
	v_and_b32_e32 v20, v5, v18
	v_lshrrev_b64 v[18:19], v31, v[5:6]
	s_delay_alu instid0(VALU_DEP_2) | instskip(NEXT) | instid1(VALU_DEP_2)
	v_cmp_eq_u64_e64 s0, v[20:21], v[32:33]
	v_dual_mov_b32 v21, v19 :: v_dual_mov_b32 v20, v18
	s_delay_alu instid0(VALU_DEP_2)
	s_and_saveexec_b32 s35, s0
; %bb.31:                               ;   in Loop: Header=BB0_28 Depth=2
	v_bfe_u32 v5, v18, 20, 1
	s_delay_alu instid0(VALU_DEP_1) | instskip(NEXT) | instid1(VALU_DEP_1)
	v_add_co_u32 v5, s0, v18, v5
	v_add_co_u32 v20, s0, v5, -1
; %bb.32:                               ;   in Loop: Header=BB0_28 Depth=2
	s_or_b32 exec_lo, exec_lo, s35
	v_add_nc_u32_e32 v5, 0xffffff81, v30
	v_lshrrev_b32_e32 v21, 23, v18
	s_mov_b32 s0, exec_lo
	s_delay_alu instid0(VALU_DEP_2) | instskip(NEXT) | instid1(VALU_DEP_1)
	v_cndmask_b32_e64 v5, v5, 0xffffff82, vcc_lo
	v_add3_u32 v21, v31, v5, v21
	v_and_b32_e32 v5, 0xfffff, v20
	s_delay_alu instid0(VALU_DEP_2) | instskip(NEXT) | instid1(VALU_DEP_2)
	v_add_nc_u32_e32 v20, 7, v21
	v_add_co_u32 v18, vcc_lo, v5, v18
	v_add_co_ci_u32_e32 v19, vcc_lo, 0, v19, vcc_lo
                                        ; implicit-def: $vgpr5
	s_delay_alu instid0(VALU_DEP_3)
	v_cmpx_ne_u32_e32 0, v20
	s_xor_b32 s0, exec_lo, s0
; %bb.33:                               ;   in Loop: Header=BB0_28 Depth=2
	s_delay_alu instid0(VALU_DEP_2) | instskip(SKIP_1) | instid1(VALU_DEP_1)
	v_cmp_lt_u64_e32 vcc_lo, 0xffffff, v[18:19]
	v_add_nc_u32_e32 v5, 8, v21
	v_cndmask_b32_e32 v5, v20, v5, vcc_lo
	v_cndmask_b32_e64 v20, 0, 1, vcc_lo
	s_delay_alu instid0(VALU_DEP_1)
	v_lshrrev_b64 v[18:19], v20, v[18:19]
; %bb.34:                               ;   in Loop: Header=BB0_28 Depth=2
	s_and_not1_saveexec_b32 s0, s0
; %bb.35:                               ;   in Loop: Header=BB0_28 Depth=2
	s_delay_alu instid0(VALU_DEP_1)
	v_bfe_u32 v5, v18, 23, 1
; %bb.36:                               ;   in Loop: Header=BB0_28 Depth=2
	s_or_b32 exec_lo, exec_lo, s0
	s_delay_alu instid0(VALU_DEP_2) | instskip(NEXT) | instid1(VALU_DEP_2)
	v_lshrrev_b64 v[18:19], 20, v[18:19]
	v_cmp_gt_i32_e32 vcc_lo, 16, v5
	v_min_i32_e32 v20, 15, v5
	v_and_b32_e32 v1, 0x80, v1
	v_cmp_eq_u32_e64 s0, 0, v5
	v_dual_cndmask_b32 v19, 0, v19 :: v_dual_cndmask_b32 v18, 7, v18
	s_delay_alu instid0(VALU_DEP_4) | instskip(NEXT) | instid1(VALU_DEP_2)
	v_lshlrev_b32_e32 v20, 3, v20
	v_and_b32_e32 v21, 7, v18
	s_delay_alu instid0(VALU_DEP_3) | instskip(NEXT) | instid1(VALU_DEP_2)
	v_cmp_eq_u64_e32 vcc_lo, 0, v[18:19]
	v_or3_b32 v1, v20, v1, v21
	s_and_b32 s0, s0, vcc_lo
	s_delay_alu instid0(VALU_DEP_1) | instid1(SALU_CYCLE_1)
	v_cndmask_b32_e64 v20, v1, 0, s0
.LBB0_37:                               ;   in Loop: Header=BB0_28 Depth=2
	s_or_b32 exec_lo, exec_lo, s34
.LBB0_38:                               ;   in Loop: Header=BB0_28 Depth=2
	s_delay_alu instid0(SALU_CYCLE_1) | instskip(SKIP_2) | instid1(VALU_DEP_2)
	s_or_b32 exec_lo, exec_lo, s33
	v_div_scale_f32 v1, null, s10, s10, v2
	v_div_scale_f32 v19, vcc_lo, v2, s10, v2
	v_rcp_f32_e32 v5, v1
	s_waitcnt_depctr 0xfff
	v_fma_f32 v18, -v1, v5, 1.0
	s_delay_alu instid0(VALU_DEP_1) | instskip(NEXT) | instid1(VALU_DEP_1)
	v_fmac_f32_e32 v5, v18, v5
	v_mul_f32_e32 v18, v19, v5
	s_delay_alu instid0(VALU_DEP_1) | instskip(NEXT) | instid1(VALU_DEP_1)
	v_fma_f32 v21, -v1, v18, v19
	v_fmac_f32_e32 v18, v21, v5
	s_delay_alu instid0(VALU_DEP_1) | instskip(NEXT) | instid1(VALU_DEP_1)
	v_fma_f32 v1, -v1, v18, v19
	v_div_fmas_f32 v1, v1, v5, v18
	s_delay_alu instid0(VALU_DEP_1) | instskip(NEXT) | instid1(VALU_DEP_1)
	v_div_fixup_f32 v1, v1, s10, v2
	v_and_b32_e32 v5, 0x7f800000, v1
	v_lshrrev_b32_e32 v30, 24, v1
	s_delay_alu instid0(VALU_DEP_2) | instskip(SKIP_1) | instid1(VALU_DEP_3)
	v_cmp_ne_u64_e32 vcc_lo, 0x7f800000, v[5:6]
	v_and_b32_e32 v5, 0x7fffffff, v1
	v_or_b32_e32 v21, 0x7f, v30
	s_delay_alu instid0(VALU_DEP_2) | instskip(NEXT) | instid1(VALU_DEP_1)
	v_cmp_gt_u64_e64 s0, 0x43700001, v[5:6]
	s_and_b32 s0, vcc_lo, s0
	s_delay_alu instid0(SALU_CYCLE_1)
	s_and_saveexec_b32 s33, s0
	s_cbranch_execz .LBB0_48
; %bb.39:                               ;   in Loop: Header=BB0_28 Depth=2
	v_mov_b32_e32 v21, 0
	s_mov_b32 s34, exec_lo
	v_cmpx_ne_u32_e32 0, v1
	s_cbranch_execz .LBB0_47
; %bb.40:                               ;   in Loop: Header=BB0_28 Depth=2
	v_bfe_u32 v21, v1, 23, 8
	v_and_b32_e32 v5, 0x7fffff, v1
	s_delay_alu instid0(VALU_DEP_2) | instskip(SKIP_1) | instid1(VALU_DEP_3)
	v_sub_nc_u32_e32 v2, 0x78, v21
	v_cmp_gt_u32_e32 vcc_lo, 0x79, v21
	v_or_b32_e32 v18, 0x800000, v5
	s_delay_alu instid0(VALU_DEP_3) | instskip(SKIP_1) | instid1(VALU_DEP_2)
	v_cndmask_b32_e32 v2, 0, v2, vcc_lo
	v_cmp_eq_u32_e32 vcc_lo, 0, v21
	v_cndmask_b32_e64 v31, v2, 0x77, vcc_lo
	s_delay_alu instid0(VALU_DEP_4) | instskip(NEXT) | instid1(VALU_DEP_2)
	v_cndmask_b32_e32 v5, v18, v5, vcc_lo
	v_add_nc_u32_e32 v1, 20, v31
	s_delay_alu instid0(VALU_DEP_1) | instskip(SKIP_1) | instid1(VALU_DEP_2)
	v_lshlrev_b64 v[1:2], v1, -1
	v_add_nc_u32_e32 v2, 19, v31
	v_not_b32_e32 v1, v1
	s_delay_alu instid0(VALU_DEP_2) | instskip(NEXT) | instid1(VALU_DEP_2)
	v_lshlrev_b64 v[32:33], v2, 1
	v_dual_mov_b32 v19, v6 :: v_dual_and_b32 v18, v5, v1
	v_lshrrev_b64 v[1:2], v31, v[5:6]
	s_delay_alu instid0(VALU_DEP_2) | instskip(NEXT) | instid1(VALU_DEP_2)
	v_cmp_eq_u64_e64 s0, v[18:19], v[32:33]
	v_dual_mov_b32 v19, v2 :: v_dual_mov_b32 v18, v1
	s_delay_alu instid0(VALU_DEP_2)
	s_and_saveexec_b32 s35, s0
; %bb.41:                               ;   in Loop: Header=BB0_28 Depth=2
	v_bfe_u32 v5, v1, 20, 1
	s_delay_alu instid0(VALU_DEP_1) | instskip(NEXT) | instid1(VALU_DEP_1)
	v_add_co_u32 v5, s0, v1, v5
	v_add_co_u32 v18, s0, v5, -1
; %bb.42:                               ;   in Loop: Header=BB0_28 Depth=2
	s_or_b32 exec_lo, exec_lo, s35
	v_add_nc_u32_e32 v5, 0xffffff81, v21
	v_lshrrev_b32_e32 v19, 23, v1
	s_mov_b32 s0, exec_lo
	s_delay_alu instid0(VALU_DEP_2) | instskip(NEXT) | instid1(VALU_DEP_1)
	v_cndmask_b32_e64 v5, v5, 0xffffff82, vcc_lo
	v_add3_u32 v19, v31, v5, v19
	v_and_b32_e32 v5, 0xfffff, v18
	s_delay_alu instid0(VALU_DEP_2) | instskip(NEXT) | instid1(VALU_DEP_2)
	v_add_nc_u32_e32 v18, 7, v19
	v_add_co_u32 v1, vcc_lo, v5, v1
	v_add_co_ci_u32_e32 v2, vcc_lo, 0, v2, vcc_lo
                                        ; implicit-def: $vgpr5
	s_delay_alu instid0(VALU_DEP_3)
	v_cmpx_ne_u32_e32 0, v18
	s_xor_b32 s0, exec_lo, s0
; %bb.43:                               ;   in Loop: Header=BB0_28 Depth=2
	s_delay_alu instid0(VALU_DEP_2) | instskip(SKIP_1) | instid1(VALU_DEP_1)
	v_cmp_lt_u64_e32 vcc_lo, 0xffffff, v[1:2]
	v_add_nc_u32_e32 v5, 8, v19
	v_cndmask_b32_e32 v5, v18, v5, vcc_lo
	v_cndmask_b32_e64 v18, 0, 1, vcc_lo
	s_delay_alu instid0(VALU_DEP_1)
	v_lshrrev_b64 v[1:2], v18, v[1:2]
; %bb.44:                               ;   in Loop: Header=BB0_28 Depth=2
	s_and_not1_saveexec_b32 s0, s0
; %bb.45:                               ;   in Loop: Header=BB0_28 Depth=2
	s_delay_alu instid0(VALU_DEP_1)
	v_bfe_u32 v5, v1, 23, 1
; %bb.46:                               ;   in Loop: Header=BB0_28 Depth=2
	s_or_b32 exec_lo, exec_lo, s0
	s_delay_alu instid0(VALU_DEP_2) | instskip(NEXT) | instid1(VALU_DEP_2)
	v_lshrrev_b64 v[1:2], 20, v[1:2]
	v_cmp_gt_i32_e32 vcc_lo, 16, v5
	v_min_i32_e32 v18, 15, v5
	v_and_b32_e32 v19, 0x80, v30
	v_cmp_eq_u32_e64 s0, 0, v5
	v_dual_cndmask_b32 v2, 0, v2 :: v_dual_cndmask_b32 v1, 7, v1
	s_delay_alu instid0(VALU_DEP_4) | instskip(NEXT) | instid1(VALU_DEP_2)
	v_lshlrev_b32_e32 v18, 3, v18
	v_and_b32_e32 v21, 7, v1
	s_delay_alu instid0(VALU_DEP_3) | instskip(NEXT) | instid1(VALU_DEP_2)
	v_cmp_eq_u64_e32 vcc_lo, 0, v[1:2]
	v_or3_b32 v1, v18, v19, v21
	s_and_b32 s0, s0, vcc_lo
	s_delay_alu instid0(VALU_DEP_1) | instid1(SALU_CYCLE_1)
	v_cndmask_b32_e64 v21, v1, 0, s0
.LBB0_47:                               ;   in Loop: Header=BB0_28 Depth=2
	s_or_b32 exec_lo, exec_lo, s34
.LBB0_48:                               ;   in Loop: Header=BB0_28 Depth=2
	s_delay_alu instid0(SALU_CYCLE_1) | instskip(SKIP_2) | instid1(VALU_DEP_2)
	s_or_b32 exec_lo, exec_lo, s33
	v_div_scale_f32 v1, null, s10, s10, v3
	v_div_scale_f32 v18, vcc_lo, v3, s10, v3
	v_rcp_f32_e32 v2, v1
	s_waitcnt_depctr 0xfff
	v_fma_f32 v5, -v1, v2, 1.0
	s_delay_alu instid0(VALU_DEP_1) | instskip(NEXT) | instid1(VALU_DEP_1)
	v_fmac_f32_e32 v2, v5, v2
	v_mul_f32_e32 v5, v18, v2
	s_delay_alu instid0(VALU_DEP_1) | instskip(NEXT) | instid1(VALU_DEP_1)
	v_fma_f32 v19, -v1, v5, v18
	v_fmac_f32_e32 v5, v19, v2
	s_delay_alu instid0(VALU_DEP_1) | instskip(NEXT) | instid1(VALU_DEP_1)
	v_fma_f32 v1, -v1, v5, v18
	v_div_fmas_f32 v1, v1, v2, v5
	s_delay_alu instid0(VALU_DEP_1) | instskip(NEXT) | instid1(VALU_DEP_1)
	v_div_fixup_f32 v1, v1, s10, v3
	v_and_b32_e32 v5, 0x7f800000, v1
	v_lshrrev_b32_e32 v3, 24, v1
	s_delay_alu instid0(VALU_DEP_2) | instskip(SKIP_1) | instid1(VALU_DEP_3)
	v_cmp_ne_u64_e32 vcc_lo, 0x7f800000, v[5:6]
	v_and_b32_e32 v5, 0x7fffffff, v1
	v_or_b32_e32 v18, 0x7f, v3
	s_delay_alu instid0(VALU_DEP_2) | instskip(NEXT) | instid1(VALU_DEP_1)
	v_cmp_gt_u64_e64 s0, 0x43700001, v[5:6]
	s_and_b32 s0, vcc_lo, s0
	s_delay_alu instid0(SALU_CYCLE_1)
	s_and_saveexec_b32 s33, s0
	s_cbranch_execz .LBB0_58
; %bb.49:                               ;   in Loop: Header=BB0_28 Depth=2
	v_mov_b32_e32 v18, 0
	s_mov_b32 s34, exec_lo
	v_cmpx_ne_u32_e32 0, v1
	s_cbranch_execz .LBB0_57
; %bb.50:                               ;   in Loop: Header=BB0_28 Depth=2
	v_bfe_u32 v30, v1, 23, 8
	v_and_b32_e32 v5, 0x7fffff, v1
	s_delay_alu instid0(VALU_DEP_2) | instskip(SKIP_1) | instid1(VALU_DEP_3)
	v_sub_nc_u32_e32 v2, 0x78, v30
	v_cmp_gt_u32_e32 vcc_lo, 0x79, v30
	v_or_b32_e32 v18, 0x800000, v5
	s_delay_alu instid0(VALU_DEP_3) | instskip(SKIP_1) | instid1(VALU_DEP_2)
	v_cndmask_b32_e32 v2, 0, v2, vcc_lo
	v_cmp_eq_u32_e32 vcc_lo, 0, v30
	v_cndmask_b32_e64 v31, v2, 0x77, vcc_lo
	s_delay_alu instid0(VALU_DEP_4) | instskip(NEXT) | instid1(VALU_DEP_2)
	v_cndmask_b32_e32 v5, v18, v5, vcc_lo
	v_add_nc_u32_e32 v1, 20, v31
	s_delay_alu instid0(VALU_DEP_1) | instskip(SKIP_1) | instid1(VALU_DEP_2)
	v_lshlrev_b64 v[1:2], v1, -1
	v_add_nc_u32_e32 v2, 19, v31
	v_not_b32_e32 v1, v1
	s_delay_alu instid0(VALU_DEP_2) | instskip(NEXT) | instid1(VALU_DEP_2)
	v_lshlrev_b64 v[32:33], v2, 1
	v_dual_mov_b32 v19, v6 :: v_dual_and_b32 v18, v5, v1
	v_lshrrev_b64 v[1:2], v31, v[5:6]
	s_delay_alu instid0(VALU_DEP_2) | instskip(NEXT) | instid1(VALU_DEP_2)
	v_cmp_eq_u64_e64 s0, v[18:19], v[32:33]
	v_dual_mov_b32 v19, v2 :: v_dual_mov_b32 v18, v1
	s_delay_alu instid0(VALU_DEP_2)
	s_and_saveexec_b32 s35, s0
; %bb.51:                               ;   in Loop: Header=BB0_28 Depth=2
	v_bfe_u32 v5, v1, 20, 1
	s_delay_alu instid0(VALU_DEP_1) | instskip(NEXT) | instid1(VALU_DEP_1)
	v_add_co_u32 v5, s0, v1, v5
	v_add_co_u32 v18, s0, v5, -1
; %bb.52:                               ;   in Loop: Header=BB0_28 Depth=2
	s_or_b32 exec_lo, exec_lo, s35
	v_add_nc_u32_e32 v5, 0xffffff81, v30
	v_lshrrev_b32_e32 v19, 23, v1
	s_mov_b32 s0, exec_lo
	s_delay_alu instid0(VALU_DEP_2) | instskip(NEXT) | instid1(VALU_DEP_1)
	v_cndmask_b32_e64 v5, v5, 0xffffff82, vcc_lo
	v_add3_u32 v19, v31, v5, v19
	v_and_b32_e32 v5, 0xfffff, v18
	s_delay_alu instid0(VALU_DEP_2) | instskip(NEXT) | instid1(VALU_DEP_2)
	v_add_nc_u32_e32 v18, 7, v19
	v_add_co_u32 v1, vcc_lo, v5, v1
	v_add_co_ci_u32_e32 v2, vcc_lo, 0, v2, vcc_lo
                                        ; implicit-def: $vgpr5
	s_delay_alu instid0(VALU_DEP_3)
	v_cmpx_ne_u32_e32 0, v18
	s_xor_b32 s0, exec_lo, s0
; %bb.53:                               ;   in Loop: Header=BB0_28 Depth=2
	s_delay_alu instid0(VALU_DEP_2) | instskip(SKIP_1) | instid1(VALU_DEP_1)
	v_cmp_lt_u64_e32 vcc_lo, 0xffffff, v[1:2]
	v_add_nc_u32_e32 v5, 8, v19
	v_cndmask_b32_e32 v5, v18, v5, vcc_lo
	v_cndmask_b32_e64 v18, 0, 1, vcc_lo
	s_delay_alu instid0(VALU_DEP_1)
	v_lshrrev_b64 v[1:2], v18, v[1:2]
; %bb.54:                               ;   in Loop: Header=BB0_28 Depth=2
	s_and_not1_saveexec_b32 s0, s0
; %bb.55:                               ;   in Loop: Header=BB0_28 Depth=2
	s_delay_alu instid0(VALU_DEP_1)
	v_bfe_u32 v5, v1, 23, 1
; %bb.56:                               ;   in Loop: Header=BB0_28 Depth=2
	s_or_b32 exec_lo, exec_lo, s0
	s_delay_alu instid0(VALU_DEP_2) | instskip(NEXT) | instid1(VALU_DEP_2)
	v_lshrrev_b64 v[1:2], 20, v[1:2]
	v_cmp_gt_i32_e32 vcc_lo, 16, v5
	v_min_i32_e32 v18, 15, v5
	v_and_b32_e32 v3, 0x80, v3
	v_cmp_eq_u32_e64 s0, 0, v5
	v_dual_cndmask_b32 v2, 0, v2 :: v_dual_cndmask_b32 v1, 7, v1
	s_delay_alu instid0(VALU_DEP_4) | instskip(NEXT) | instid1(VALU_DEP_2)
	v_lshlrev_b32_e32 v18, 3, v18
	v_and_b32_e32 v19, 7, v1
	s_delay_alu instid0(VALU_DEP_3) | instskip(NEXT) | instid1(VALU_DEP_2)
	v_cmp_eq_u64_e32 vcc_lo, 0, v[1:2]
	v_or3_b32 v1, v18, v3, v19
	s_and_b32 s0, s0, vcc_lo
	s_delay_alu instid0(VALU_DEP_1) | instid1(SALU_CYCLE_1)
	v_cndmask_b32_e64 v18, v1, 0, s0
.LBB0_57:                               ;   in Loop: Header=BB0_28 Depth=2
	s_or_b32 exec_lo, exec_lo, s34
.LBB0_58:                               ;   in Loop: Header=BB0_28 Depth=2
	s_delay_alu instid0(SALU_CYCLE_1) | instskip(SKIP_2) | instid1(VALU_DEP_2)
	s_or_b32 exec_lo, exec_lo, s33
	v_div_scale_f32 v1, null, s10, s10, v4
	v_div_scale_f32 v5, vcc_lo, v4, s10, v4
	v_rcp_f32_e32 v2, v1
	s_waitcnt_depctr 0xfff
	v_fma_f32 v3, -v1, v2, 1.0
	s_delay_alu instid0(VALU_DEP_1) | instskip(NEXT) | instid1(VALU_DEP_1)
	v_fmac_f32_e32 v2, v3, v2
	v_mul_f32_e32 v3, v5, v2
	s_delay_alu instid0(VALU_DEP_1) | instskip(NEXT) | instid1(VALU_DEP_1)
	v_fma_f32 v19, -v1, v3, v5
	v_fmac_f32_e32 v3, v19, v2
	s_delay_alu instid0(VALU_DEP_1) | instskip(NEXT) | instid1(VALU_DEP_1)
	v_fma_f32 v1, -v1, v3, v5
	v_div_fmas_f32 v1, v1, v2, v3
	s_delay_alu instid0(VALU_DEP_1) | instskip(NEXT) | instid1(VALU_DEP_1)
	v_div_fixup_f32 v1, v1, s10, v4
	v_and_b32_e32 v5, 0x7f800000, v1
	v_lshrrev_b32_e32 v19, 24, v1
	s_delay_alu instid0(VALU_DEP_2) | instskip(SKIP_1) | instid1(VALU_DEP_3)
	v_cmp_ne_u64_e32 vcc_lo, 0x7f800000, v[5:6]
	v_and_b32_e32 v5, 0x7fffffff, v1
	v_or_b32_e32 v2, 0x7f, v19
	s_delay_alu instid0(VALU_DEP_2) | instskip(NEXT) | instid1(VALU_DEP_1)
	v_cmp_gt_u64_e64 s0, 0x43700001, v[5:6]
	s_and_b32 s0, vcc_lo, s0
	s_delay_alu instid0(SALU_CYCLE_1)
	s_and_saveexec_b32 s33, s0
	s_cbranch_execz .LBB0_27
; %bb.59:                               ;   in Loop: Header=BB0_28 Depth=2
	v_mov_b32_e32 v2, 0
	s_mov_b32 s34, exec_lo
	v_cmpx_ne_u32_e32 0, v1
	s_cbranch_execz .LBB0_26
; %bb.60:                               ;   in Loop: Header=BB0_28 Depth=2
	v_bfe_u32 v30, v1, 23, 8
	v_and_b32_e32 v3, 0x7fffff, v1
	s_delay_alu instid0(VALU_DEP_2) | instskip(SKIP_1) | instid1(VALU_DEP_3)
	v_sub_nc_u32_e32 v2, 0x78, v30
	v_cmp_gt_u32_e32 vcc_lo, 0x79, v30
	v_or_b32_e32 v4, 0x800000, v3
	s_delay_alu instid0(VALU_DEP_3) | instskip(SKIP_1) | instid1(VALU_DEP_2)
	v_cndmask_b32_e32 v2, 0, v2, vcc_lo
	v_cmp_eq_u32_e32 vcc_lo, 0, v30
	v_cndmask_b32_e64 v31, v2, 0x77, vcc_lo
	s_delay_alu instid0(VALU_DEP_4) | instskip(NEXT) | instid1(VALU_DEP_2)
	v_dual_cndmask_b32 v5, v4, v3 :: v_dual_mov_b32 v4, v6
	v_add_nc_u32_e32 v1, 20, v31
	s_delay_alu instid0(VALU_DEP_1) | instskip(SKIP_1) | instid1(VALU_DEP_2)
	v_lshlrev_b64 v[1:2], v1, -1
	v_add_nc_u32_e32 v2, 19, v31
	v_not_b32_e32 v1, v1
	s_delay_alu instid0(VALU_DEP_2) | instskip(NEXT) | instid1(VALU_DEP_2)
	v_lshlrev_b64 v[32:33], v2, 1
	v_and_b32_e32 v3, v5, v1
	v_lshrrev_b64 v[1:2], v31, v[5:6]
	s_delay_alu instid0(VALU_DEP_2) | instskip(NEXT) | instid1(VALU_DEP_2)
	v_cmp_eq_u64_e64 s0, v[3:4], v[32:33]
	v_dual_mov_b32 v4, v2 :: v_dual_mov_b32 v3, v1
	s_delay_alu instid0(VALU_DEP_2)
	s_and_saveexec_b32 s35, s0
; %bb.61:                               ;   in Loop: Header=BB0_28 Depth=2
	v_bfe_u32 v3, v1, 20, 1
	s_delay_alu instid0(VALU_DEP_1) | instskip(NEXT) | instid1(VALU_DEP_1)
	v_add_co_u32 v3, s0, v1, v3
	v_add_co_u32 v3, s0, v3, -1
; %bb.62:                               ;   in Loop: Header=BB0_28 Depth=2
	s_or_b32 exec_lo, exec_lo, s35
	v_add_nc_u32_e32 v4, 0xffffff81, v30
	v_lshrrev_b32_e32 v5, 23, v1
	s_delay_alu instid0(VALU_DEP_3) | instskip(SKIP_1) | instid1(VALU_DEP_3)
	v_and_b32_e32 v3, 0xfffff, v3
	s_mov_b32 s0, exec_lo
	v_cndmask_b32_e64 v4, v4, 0xffffff82, vcc_lo
	s_delay_alu instid0(VALU_DEP_2) | instskip(SKIP_1) | instid1(VALU_DEP_3)
	v_add_co_u32 v1, vcc_lo, v3, v1
	v_add_co_ci_u32_e32 v2, vcc_lo, 0, v2, vcc_lo
	v_add3_u32 v4, v31, v4, v5
                                        ; implicit-def: $vgpr3
	s_delay_alu instid0(VALU_DEP_1) | instskip(NEXT) | instid1(VALU_DEP_1)
	v_add_nc_u32_e32 v5, 7, v4
	v_cmpx_ne_u32_e32 0, v5
	s_xor_b32 s0, exec_lo, s0
; %bb.63:                               ;   in Loop: Header=BB0_28 Depth=2
	v_cmp_lt_u64_e32 vcc_lo, 0xffffff, v[1:2]
	v_add_nc_u32_e32 v3, 8, v4
	v_cndmask_b32_e64 v4, 0, 1, vcc_lo
	s_delay_alu instid0(VALU_DEP_2) | instskip(NEXT) | instid1(VALU_DEP_2)
	v_cndmask_b32_e32 v3, v5, v3, vcc_lo
	v_lshrrev_b64 v[1:2], v4, v[1:2]
; %bb.64:                               ;   in Loop: Header=BB0_28 Depth=2
	s_and_not1_saveexec_b32 s0, s0
	s_cbranch_execz .LBB0_25
; %bb.65:                               ;   in Loop: Header=BB0_28 Depth=2
	s_delay_alu instid0(VALU_DEP_1)
	v_bfe_u32 v3, v1, 23, 1
	s_branch .LBB0_25
.LBB0_66:                               ;   in Loop: Header=BB0_7 Depth=1
	s_or_b32 exec_lo, exec_lo, s30
	s_delay_alu instid0(VALU_DEP_2) | instskip(SKIP_1) | instid1(VALU_DEP_1)
	v_lshlrev_b32_e32 v1, 2, v28
	s_mov_b32 s30, exec_lo
	v_cmpx_lt_i32_e64 v1, v27
	s_cbranch_execz .LBB0_81
; %bb.67:                               ;   in Loop: Header=BB0_7 Depth=1
	v_lshlrev_b64 v[2:3], 2, v[12:13]
	s_mov_b32 s31, 0
	s_delay_alu instid0(VALU_DEP_1) | instskip(NEXT) | instid1(VALU_DEP_2)
	v_add_co_u32 v4, vcc_lo, v2, v7
	v_add_co_ci_u32_e32 v3, vcc_lo, v3, v8, vcc_lo
	v_ashrrev_i32_e32 v2, 31, v1
	s_delay_alu instid0(VALU_DEP_3) | instskip(NEXT) | instid1(VALU_DEP_3)
	v_add_co_u32 v5, vcc_lo, v4, v9
	v_add_co_ci_u32_e32 v14, vcc_lo, v3, v10, vcc_lo
	v_add_co_u32 v12, vcc_lo, v12, v23
	v_add_co_ci_u32_e32 v13, vcc_lo, v13, v24, vcc_lo
	v_lshlrev_b64 v[3:4], 2, v[1:2]
	s_delay_alu instid0(VALU_DEP_3) | instskip(NEXT) | instid1(VALU_DEP_3)
	v_add_co_u32 v12, vcc_lo, v12, v25
	v_add_co_ci_u32_e32 v13, vcc_lo, v13, v26, vcc_lo
	s_delay_alu instid0(VALU_DEP_3) | instskip(NEXT) | instid1(VALU_DEP_4)
	v_add_co_u32 v3, vcc_lo, v5, v3
	v_add_co_ci_u32_e32 v4, vcc_lo, v14, v4, vcc_lo
	s_delay_alu instid0(VALU_DEP_4) | instskip(NEXT) | instid1(VALU_DEP_4)
	v_add_co_u32 v5, vcc_lo, v12, v1
	v_add_co_ci_u32_e32 v13, vcc_lo, v13, v2, vcc_lo
	s_delay_alu instid0(VALU_DEP_4) | instskip(NEXT) | instid1(VALU_DEP_4)
	;; [unrolled: 3-line block ×3, first 2 shown]
	v_add_co_u32 v12, vcc_lo, s2, v5
	v_add_co_ci_u32_e32 v13, vcc_lo, s3, v13, vcc_lo
	s_branch .LBB0_72
.LBB0_68:                               ;   in Loop: Header=BB0_72 Depth=2
	s_or_b32 exec_lo, exec_lo, s0
	s_delay_alu instid0(VALU_DEP_1) | instskip(NEXT) | instid1(VALU_DEP_2)
	v_lshrrev_b64 v[4:5], 20, v[4:5]
	v_cmp_gt_i32_e32 vcc_lo, 16, v14
	v_and_b32_e32 v15, 0x80, v16
	v_min_i32_e32 v16, 15, v14
	v_cmp_eq_u32_e64 s0, 0, v14
	v_dual_cndmask_b32 v5, 0, v5 :: v_dual_cndmask_b32 v4, 7, v4
	s_delay_alu instid0(VALU_DEP_3) | instskip(NEXT) | instid1(VALU_DEP_2)
	v_lshl_or_b32 v15, v16, 3, v15
	v_cmp_eq_u64_e32 vcc_lo, 0, v[4:5]
	s_delay_alu instid0(VALU_DEP_2)
	v_and_or_b32 v4, v4, 7, v15
	s_and_b32 s0, s0, vcc_lo
	s_delay_alu instid0(VALU_DEP_1) | instid1(SALU_CYCLE_1)
	v_cndmask_b32_e64 v4, v4, 0, s0
.LBB0_69:                               ;   in Loop: Header=BB0_72 Depth=2
	s_or_b32 exec_lo, exec_lo, s35
.LBB0_70:                               ;   in Loop: Header=BB0_72 Depth=2
	s_and_not1_saveexec_b32 s0, s34
	s_delay_alu instid0(SALU_CYCLE_1)
	s_or_b32 exec_lo, exec_lo, s0
.LBB0_71:                               ;   in Loop: Header=BB0_72 Depth=2
	s_and_not1_saveexec_b32 s0, s33
	s_delay_alu instid0(SALU_CYCLE_1)
	s_or_b32 exec_lo, exec_lo, s0
	v_add_nc_u32_e32 v1, 1, v1
	v_add_co_u32 v2, vcc_lo, v2, 4
	v_add_co_ci_u32_e32 v3, vcc_lo, 0, v3, vcc_lo
	global_store_b8 v[12:13], v4, off
	v_cmp_ge_i32_e32 vcc_lo, v1, v27
	v_add_co_u32 v12, s0, v12, 1
	s_delay_alu instid0(VALU_DEP_1) | instskip(SKIP_1) | instid1(SALU_CYCLE_1)
	v_add_co_ci_u32_e64 v13, s0, 0, v13, s0
	s_or_b32 s31, vcc_lo, s31
	s_and_not1_b32 exec_lo, exec_lo, s31
	s_cbranch_execz .LBB0_81
.LBB0_72:                               ;   Parent Loop BB0_7 Depth=1
                                        ; =>  This Inner Loop Header: Depth=2
	global_load_b32 v4, v[2:3], off
	s_mov_b32 s0, exec_lo
	s_waitcnt vmcnt(0)
	v_div_scale_f32 v5, null, s10, s10, v4
	s_delay_alu instid0(VALU_DEP_1) | instskip(SKIP_2) | instid1(VALU_DEP_1)
	v_rcp_f32_e32 v14, v5
	s_waitcnt_depctr 0xfff
	v_fma_f32 v15, -v5, v14, 1.0
	v_fmac_f32_e32 v14, v15, v14
	v_div_scale_f32 v15, vcc_lo, v4, s10, v4
	s_delay_alu instid0(VALU_DEP_1) | instskip(NEXT) | instid1(VALU_DEP_1)
	v_mul_f32_e32 v16, v15, v14
	v_fma_f32 v17, -v5, v16, v15
	s_delay_alu instid0(VALU_DEP_1) | instskip(NEXT) | instid1(VALU_DEP_1)
	v_fmac_f32_e32 v16, v17, v14
	v_fma_f32 v5, -v5, v16, v15
	s_delay_alu instid0(VALU_DEP_1) | instskip(NEXT) | instid1(VALU_DEP_1)
	v_div_fmas_f32 v5, v5, v14, v16
	v_div_fixup_f32 v14, v5, s10, v4
	s_delay_alu instid0(VALU_DEP_1) | instskip(SKIP_1) | instid1(VALU_DEP_2)
	v_lshrrev_b32_e32 v16, 24, v14
	v_and_b32_e32 v5, 0x7f800000, v14
	v_or_b32_e32 v4, 0x7f, v16
	s_delay_alu instid0(VALU_DEP_2)
	v_cmpx_ne_u64_e32 0x7f800000, v[5:6]
	s_xor_b32 s33, exec_lo, s0
	s_cbranch_execz .LBB0_71
; %bb.73:                               ;   in Loop: Header=BB0_72 Depth=2
	v_and_b32_e32 v5, 0x7fffffff, v14
	s_mov_b32 s0, exec_lo
	s_delay_alu instid0(VALU_DEP_1)
	v_cmpx_gt_u64_e32 0x43700001, v[5:6]
	s_xor_b32 s34, exec_lo, s0
	s_cbranch_execz .LBB0_70
; %bb.74:                               ;   in Loop: Header=BB0_72 Depth=2
	v_mov_b32_e32 v4, 0
	s_mov_b32 s35, exec_lo
	v_cmpx_ne_u32_e32 0, v14
	s_cbranch_execz .LBB0_69
; %bb.75:                               ;   in Loop: Header=BB0_72 Depth=2
	v_bfe_u32 v17, v14, 23, 8
	v_and_b32_e32 v14, 0x7fffff, v14
	s_delay_alu instid0(VALU_DEP_2) | instskip(SKIP_1) | instid1(VALU_DEP_3)
	v_sub_nc_u32_e32 v4, 0x78, v17
	v_cmp_gt_u32_e32 vcc_lo, 0x79, v17
	v_or_b32_e32 v15, 0x800000, v14
	s_delay_alu instid0(VALU_DEP_3) | instskip(SKIP_1) | instid1(VALU_DEP_2)
	v_cndmask_b32_e32 v4, 0, v4, vcc_lo
	v_cmp_eq_u32_e32 vcc_lo, 0, v17
	v_cndmask_b32_e64 v18, v4, 0x77, vcc_lo
	s_delay_alu instid0(VALU_DEP_1) | instskip(NEXT) | instid1(VALU_DEP_1)
	v_add_nc_u32_e32 v4, 20, v18
	v_lshlrev_b64 v[4:5], v4, -1
	v_cndmask_b32_e32 v5, v15, v14, vcc_lo
	v_dual_mov_b32 v15, v6 :: v_dual_add_nc_u32 v14, 19, v18
	s_delay_alu instid0(VALU_DEP_3) | instskip(NEXT) | instid1(VALU_DEP_2)
	v_not_b32_e32 v4, v4
	v_lshlrev_b64 v[19:20], v14, 1
	s_delay_alu instid0(VALU_DEP_2) | instskip(SKIP_1) | instid1(VALU_DEP_2)
	v_and_b32_e32 v14, v5, v4
	v_lshrrev_b64 v[4:5], v18, v[5:6]
	v_cmp_eq_u64_e64 s0, v[14:15], v[19:20]
	s_delay_alu instid0(VALU_DEP_2) | instskip(NEXT) | instid1(VALU_DEP_2)
	v_dual_mov_b32 v15, v5 :: v_dual_mov_b32 v14, v4
	s_and_saveexec_b32 s36, s0
; %bb.76:                               ;   in Loop: Header=BB0_72 Depth=2
	v_bfe_u32 v14, v4, 20, 1
	s_delay_alu instid0(VALU_DEP_1) | instskip(NEXT) | instid1(VALU_DEP_1)
	v_add_co_u32 v14, s0, v4, v14
	v_add_co_u32 v14, s0, v14, -1
; %bb.77:                               ;   in Loop: Header=BB0_72 Depth=2
	s_or_b32 exec_lo, exec_lo, s36
	v_add_nc_u32_e32 v15, 0xffffff81, v17
	v_lshrrev_b32_e32 v17, 23, v4
	s_delay_alu instid0(VALU_DEP_3) | instskip(SKIP_1) | instid1(VALU_DEP_3)
	v_and_b32_e32 v14, 0xfffff, v14
	s_mov_b32 s0, exec_lo
	v_cndmask_b32_e64 v15, v15, 0xffffff82, vcc_lo
	s_delay_alu instid0(VALU_DEP_2) | instskip(SKIP_1) | instid1(VALU_DEP_3)
	v_add_co_u32 v4, vcc_lo, v14, v4
	v_add_co_ci_u32_e32 v5, vcc_lo, 0, v5, vcc_lo
	v_add3_u32 v15, v18, v15, v17
                                        ; implicit-def: $vgpr14
	s_delay_alu instid0(VALU_DEP_1) | instskip(NEXT) | instid1(VALU_DEP_1)
	v_add_nc_u32_e32 v17, 7, v15
	v_cmpx_ne_u32_e32 0, v17
	s_xor_b32 s0, exec_lo, s0
; %bb.78:                               ;   in Loop: Header=BB0_72 Depth=2
	v_cmp_lt_u64_e32 vcc_lo, 0xffffff, v[4:5]
	v_add_nc_u32_e32 v14, 8, v15
	v_cndmask_b32_e64 v15, 0, 1, vcc_lo
	s_delay_alu instid0(VALU_DEP_2) | instskip(NEXT) | instid1(VALU_DEP_2)
	v_cndmask_b32_e32 v14, v17, v14, vcc_lo
	v_lshrrev_b64 v[4:5], v15, v[4:5]
; %bb.79:                               ;   in Loop: Header=BB0_72 Depth=2
	s_and_not1_saveexec_b32 s0, s0
	s_cbranch_execz .LBB0_68
; %bb.80:                               ;   in Loop: Header=BB0_72 Depth=2
	s_delay_alu instid0(VALU_DEP_1)
	v_bfe_u32 v14, v4, 23, 1
	s_branch .LBB0_68
.LBB0_81:                               ;   in Loop: Header=BB0_7 Depth=1
	s_or_b32 exec_lo, exec_lo, s30
                                        ; implicit-def: $vgpr25
                                        ; implicit-def: $vgpr26
.LBB0_82:                               ;   in Loop: Header=BB0_7 Depth=1
	s_and_not1_saveexec_b32 s29, s29
	s_cbranch_execz .LBB0_126
; %bb.83:                               ;   in Loop: Header=BB0_7 Depth=1
	s_and_not1_b32 vcc_lo, exec_lo, s5
	s_cbranch_vccnz .LBB0_126
; %bb.84:                               ;   in Loop: Header=BB0_7 Depth=1
	v_add_co_u32 v1, vcc_lo, v23, v25
	v_add_co_ci_u32_e32 v2, vcc_lo, v24, v26, vcc_lo
	v_add_co_u32 v3, vcc_lo, v7, v9
	v_add_co_ci_u32_e32 v4, vcc_lo, v8, v10, vcc_lo
	s_delay_alu instid0(VALU_DEP_4) | instskip(NEXT) | instid1(VALU_DEP_4)
	v_add_co_u32 v12, vcc_lo, s2, v1
	v_add_co_ci_u32_e32 v13, vcc_lo, s3, v2, vcc_lo
	s_delay_alu instid0(VALU_DEP_4) | instskip(NEXT) | instid1(VALU_DEP_4)
	v_add_co_u32 v14, vcc_lo, s16, v3
	v_add_co_ci_u32_e32 v15, vcc_lo, s17, v4, vcc_lo
	s_mov_b32 s30, s12
	s_branch .LBB0_88
.LBB0_85:                               ;   in Loop: Header=BB0_88 Depth=2
	s_or_b32 exec_lo, exec_lo, s0
	s_delay_alu instid0(VALU_DEP_1) | instskip(NEXT) | instid1(VALU_DEP_2)
	v_lshrrev_b64 v[1:2], 20, v[1:2]
	v_cmp_gt_i32_e32 vcc_lo, 16, v3
	v_min_i32_e32 v4, 15, v3
	v_and_b32_e32 v5, 0x80, v17
	v_cmp_eq_u32_e64 s0, 0, v3
	v_dual_cndmask_b32 v2, 0, v2 :: v_dual_cndmask_b32 v1, 7, v1
	s_delay_alu instid0(VALU_DEP_4) | instskip(NEXT) | instid1(VALU_DEP_2)
	v_lshlrev_b32_e32 v4, 3, v4
	v_and_b32_e32 v17, 7, v1
	s_delay_alu instid0(VALU_DEP_3) | instskip(NEXT) | instid1(VALU_DEP_2)
	v_cmp_eq_u64_e32 vcc_lo, 0, v[1:2]
	v_or3_b32 v1, v4, v5, v17
	s_and_b32 s0, s0, vcc_lo
	s_delay_alu instid0(VALU_DEP_1) | instid1(SALU_CYCLE_1)
	v_cndmask_b32_e64 v2, v1, 0, s0
.LBB0_86:                               ;   in Loop: Header=BB0_88 Depth=2
	s_or_b32 exec_lo, exec_lo, s33
.LBB0_87:                               ;   in Loop: Header=BB0_88 Depth=2
	s_delay_alu instid0(SALU_CYCLE_1) | instskip(SKIP_4) | instid1(SALU_CYCLE_1)
	s_or_b32 exec_lo, exec_lo, s31
	v_lshlrev_b32_e32 v1, 16, v16
	v_lshlrev_b32_e32 v3, 8, v19
	v_and_b32_e32 v4, 0xff, v18
	s_add_i32 s30, s30, -1
	s_cmp_eq_u32 s30, 0
	v_perm_b32 v1, v2, v1, 0x4020c0c
	v_and_b32_e32 v2, 0xff00, v3
	s_delay_alu instid0(VALU_DEP_1)
	v_or3_b32 v1, v1, v2, v4
	global_store_b32 v[12:13], v1, off
	v_add_co_u32 v12, vcc_lo, v12, 4
	v_add_co_ci_u32_e32 v13, vcc_lo, 0, v13, vcc_lo
	v_add_co_u32 v14, vcc_lo, v14, 16
	v_add_co_ci_u32_e32 v15, vcc_lo, 0, v15, vcc_lo
	s_cbranch_scc1 .LBB0_126
.LBB0_88:                               ;   Parent Loop BB0_7 Depth=1
                                        ; =>  This Inner Loop Header: Depth=2
	global_load_b128 v[1:4], v[14:15], off offset:-8
	s_waitcnt vmcnt(0)
	v_div_scale_f32 v5, null, s10, s10, v1
	v_div_scale_f32 v18, vcc_lo, v1, s10, v1
	s_delay_alu instid0(VALU_DEP_2) | instskip(SKIP_2) | instid1(VALU_DEP_1)
	v_rcp_f32_e32 v16, v5
	s_waitcnt_depctr 0xfff
	v_fma_f32 v17, -v5, v16, 1.0
	v_fmac_f32_e32 v16, v17, v16
	s_delay_alu instid0(VALU_DEP_1) | instskip(NEXT) | instid1(VALU_DEP_1)
	v_mul_f32_e32 v17, v18, v16
	v_fma_f32 v19, -v5, v17, v18
	s_delay_alu instid0(VALU_DEP_1) | instskip(NEXT) | instid1(VALU_DEP_1)
	v_fmac_f32_e32 v17, v19, v16
	v_fma_f32 v5, -v5, v17, v18
	s_delay_alu instid0(VALU_DEP_1) | instskip(NEXT) | instid1(VALU_DEP_1)
	v_div_fmas_f32 v5, v5, v16, v17
	v_div_fixup_f32 v16, v5, s10, v1
	s_delay_alu instid0(VALU_DEP_1) | instskip(SKIP_1) | instid1(VALU_DEP_2)
	v_and_b32_e32 v5, 0x7f800000, v16
	v_lshrrev_b32_e32 v1, 24, v16
	v_cmp_ne_u64_e32 vcc_lo, 0x7f800000, v[5:6]
	v_and_b32_e32 v5, 0x7fffffff, v16
	s_delay_alu instid0(VALU_DEP_3) | instskip(NEXT) | instid1(VALU_DEP_2)
	v_or_b32_e32 v18, 0x7f, v1
	v_cmp_gt_u64_e64 s0, 0x43700001, v[5:6]
	s_delay_alu instid0(VALU_DEP_1) | instskip(NEXT) | instid1(SALU_CYCLE_1)
	s_and_b32 s0, vcc_lo, s0
	s_and_saveexec_b32 s31, s0
	s_cbranch_execz .LBB0_98
; %bb.89:                               ;   in Loop: Header=BB0_88 Depth=2
	v_mov_b32_e32 v18, 0
	s_mov_b32 s33, exec_lo
	v_cmpx_ne_u32_e32 0, v16
	s_cbranch_execz .LBB0_97
; %bb.90:                               ;   in Loop: Header=BB0_88 Depth=2
	v_bfe_u32 v20, v16, 23, 8
	v_mov_b32_e32 v19, v6
	s_delay_alu instid0(VALU_DEP_2) | instskip(SKIP_1) | instid1(VALU_DEP_2)
	v_sub_nc_u32_e32 v5, 0x78, v20
	v_cmp_gt_u32_e32 vcc_lo, 0x79, v20
	v_cndmask_b32_e32 v5, 0, v5, vcc_lo
	v_cmp_eq_u32_e32 vcc_lo, 0, v20
	s_delay_alu instid0(VALU_DEP_2) | instskip(SKIP_1) | instid1(VALU_DEP_2)
	v_cndmask_b32_e64 v21, v5, 0x77, vcc_lo
	v_and_b32_e32 v5, 0x7fffff, v16
	v_add_nc_u32_e32 v16, 20, v21
	s_delay_alu instid0(VALU_DEP_2) | instskip(NEXT) | instid1(VALU_DEP_2)
	v_or_b32_e32 v18, 0x800000, v5
	v_lshlrev_b64 v[16:17], v16, -1
	s_delay_alu instid0(VALU_DEP_2) | instskip(SKIP_1) | instid1(VALU_DEP_3)
	v_cndmask_b32_e32 v5, v18, v5, vcc_lo
	v_add_nc_u32_e32 v17, 19, v21
	v_not_b32_e32 v16, v16
	s_delay_alu instid0(VALU_DEP_2) | instskip(NEXT) | instid1(VALU_DEP_2)
	v_lshlrev_b64 v[25:26], v17, 1
	v_and_b32_e32 v18, v5, v16
	v_lshrrev_b64 v[16:17], v21, v[5:6]
	s_delay_alu instid0(VALU_DEP_2) | instskip(NEXT) | instid1(VALU_DEP_2)
	v_cmp_eq_u64_e64 s0, v[18:19], v[25:26]
	v_dual_mov_b32 v19, v17 :: v_dual_mov_b32 v18, v16
	s_delay_alu instid0(VALU_DEP_2)
	s_and_saveexec_b32 s34, s0
; %bb.91:                               ;   in Loop: Header=BB0_88 Depth=2
	v_bfe_u32 v5, v16, 20, 1
	s_delay_alu instid0(VALU_DEP_1) | instskip(NEXT) | instid1(VALU_DEP_1)
	v_add_co_u32 v5, s0, v16, v5
	v_add_co_u32 v18, s0, v5, -1
; %bb.92:                               ;   in Loop: Header=BB0_88 Depth=2
	s_or_b32 exec_lo, exec_lo, s34
	v_add_nc_u32_e32 v5, 0xffffff81, v20
	v_lshrrev_b32_e32 v19, 23, v16
	s_mov_b32 s0, exec_lo
	s_delay_alu instid0(VALU_DEP_2) | instskip(NEXT) | instid1(VALU_DEP_1)
	v_cndmask_b32_e64 v5, v5, 0xffffff82, vcc_lo
	v_add3_u32 v19, v21, v5, v19
	v_and_b32_e32 v5, 0xfffff, v18
	s_delay_alu instid0(VALU_DEP_2) | instskip(NEXT) | instid1(VALU_DEP_2)
	v_add_nc_u32_e32 v18, 7, v19
	v_add_co_u32 v16, vcc_lo, v5, v16
	v_add_co_ci_u32_e32 v17, vcc_lo, 0, v17, vcc_lo
                                        ; implicit-def: $vgpr5
	s_delay_alu instid0(VALU_DEP_3)
	v_cmpx_ne_u32_e32 0, v18
	s_xor_b32 s0, exec_lo, s0
; %bb.93:                               ;   in Loop: Header=BB0_88 Depth=2
	s_delay_alu instid0(VALU_DEP_2) | instskip(SKIP_1) | instid1(VALU_DEP_1)
	v_cmp_lt_u64_e32 vcc_lo, 0xffffff, v[16:17]
	v_add_nc_u32_e32 v5, 8, v19
	v_cndmask_b32_e32 v5, v18, v5, vcc_lo
	v_cndmask_b32_e64 v18, 0, 1, vcc_lo
	s_delay_alu instid0(VALU_DEP_1)
	v_lshrrev_b64 v[16:17], v18, v[16:17]
; %bb.94:                               ;   in Loop: Header=BB0_88 Depth=2
	s_and_not1_saveexec_b32 s0, s0
; %bb.95:                               ;   in Loop: Header=BB0_88 Depth=2
	s_delay_alu instid0(VALU_DEP_1)
	v_bfe_u32 v5, v16, 23, 1
; %bb.96:                               ;   in Loop: Header=BB0_88 Depth=2
	s_or_b32 exec_lo, exec_lo, s0
	s_delay_alu instid0(VALU_DEP_2) | instskip(NEXT) | instid1(VALU_DEP_2)
	v_lshrrev_b64 v[16:17], 20, v[16:17]
	v_cmp_gt_i32_e32 vcc_lo, 16, v5
	v_min_i32_e32 v18, 15, v5
	v_and_b32_e32 v1, 0x80, v1
	v_cmp_eq_u32_e64 s0, 0, v5
	v_dual_cndmask_b32 v17, 0, v17 :: v_dual_cndmask_b32 v16, 7, v16
	s_delay_alu instid0(VALU_DEP_4) | instskip(NEXT) | instid1(VALU_DEP_2)
	v_lshlrev_b32_e32 v18, 3, v18
	v_and_b32_e32 v19, 7, v16
	s_delay_alu instid0(VALU_DEP_3) | instskip(NEXT) | instid1(VALU_DEP_2)
	v_cmp_eq_u64_e32 vcc_lo, 0, v[16:17]
	v_or3_b32 v1, v18, v1, v19
	s_and_b32 s0, s0, vcc_lo
	s_delay_alu instid0(VALU_DEP_1) | instid1(SALU_CYCLE_1)
	v_cndmask_b32_e64 v18, v1, 0, s0
.LBB0_97:                               ;   in Loop: Header=BB0_88 Depth=2
	s_or_b32 exec_lo, exec_lo, s33
.LBB0_98:                               ;   in Loop: Header=BB0_88 Depth=2
	s_delay_alu instid0(SALU_CYCLE_1) | instskip(SKIP_2) | instid1(VALU_DEP_2)
	s_or_b32 exec_lo, exec_lo, s31
	v_div_scale_f32 v1, null, s10, s10, v2
	v_div_scale_f32 v17, vcc_lo, v2, s10, v2
	v_rcp_f32_e32 v5, v1
	s_waitcnt_depctr 0xfff
	v_fma_f32 v16, -v1, v5, 1.0
	s_delay_alu instid0(VALU_DEP_1) | instskip(NEXT) | instid1(VALU_DEP_1)
	v_fmac_f32_e32 v5, v16, v5
	v_mul_f32_e32 v16, v17, v5
	s_delay_alu instid0(VALU_DEP_1) | instskip(NEXT) | instid1(VALU_DEP_1)
	v_fma_f32 v19, -v1, v16, v17
	v_fmac_f32_e32 v16, v19, v5
	s_delay_alu instid0(VALU_DEP_1) | instskip(NEXT) | instid1(VALU_DEP_1)
	v_fma_f32 v1, -v1, v16, v17
	v_div_fmas_f32 v1, v1, v5, v16
	s_delay_alu instid0(VALU_DEP_1) | instskip(NEXT) | instid1(VALU_DEP_1)
	v_div_fixup_f32 v1, v1, s10, v2
	v_and_b32_e32 v5, 0x7f800000, v1
	v_lshrrev_b32_e32 v20, 24, v1
	s_delay_alu instid0(VALU_DEP_2) | instskip(SKIP_1) | instid1(VALU_DEP_3)
	v_cmp_ne_u64_e32 vcc_lo, 0x7f800000, v[5:6]
	v_and_b32_e32 v5, 0x7fffffff, v1
	v_or_b32_e32 v19, 0x7f, v20
	s_delay_alu instid0(VALU_DEP_2) | instskip(NEXT) | instid1(VALU_DEP_1)
	v_cmp_gt_u64_e64 s0, 0x43700001, v[5:6]
	s_and_b32 s0, vcc_lo, s0
	s_delay_alu instid0(SALU_CYCLE_1)
	s_and_saveexec_b32 s31, s0
	s_cbranch_execz .LBB0_108
; %bb.99:                               ;   in Loop: Header=BB0_88 Depth=2
	v_mov_b32_e32 v19, 0
	s_mov_b32 s33, exec_lo
	v_cmpx_ne_u32_e32 0, v1
	s_cbranch_execz .LBB0_107
; %bb.100:                              ;   in Loop: Header=BB0_88 Depth=2
	v_bfe_u32 v19, v1, 23, 8
	v_and_b32_e32 v5, 0x7fffff, v1
	v_mov_b32_e32 v17, v6
	s_delay_alu instid0(VALU_DEP_3) | instskip(SKIP_1) | instid1(VALU_DEP_4)
	v_sub_nc_u32_e32 v2, 0x78, v19
	v_cmp_gt_u32_e32 vcc_lo, 0x79, v19
	v_or_b32_e32 v16, 0x800000, v5
	s_delay_alu instid0(VALU_DEP_3) | instskip(SKIP_1) | instid1(VALU_DEP_2)
	v_cndmask_b32_e32 v2, 0, v2, vcc_lo
	v_cmp_eq_u32_e32 vcc_lo, 0, v19
	v_cndmask_b32_e64 v21, v2, 0x77, vcc_lo
	s_delay_alu instid0(VALU_DEP_4) | instskip(NEXT) | instid1(VALU_DEP_2)
	v_cndmask_b32_e32 v5, v16, v5, vcc_lo
	v_add_nc_u32_e32 v1, 20, v21
	s_delay_alu instid0(VALU_DEP_1) | instskip(SKIP_1) | instid1(VALU_DEP_2)
	v_lshlrev_b64 v[1:2], v1, -1
	v_add_nc_u32_e32 v2, 19, v21
	v_not_b32_e32 v1, v1
	s_delay_alu instid0(VALU_DEP_2) | instskip(NEXT) | instid1(VALU_DEP_2)
	v_lshlrev_b64 v[25:26], v2, 1
	v_and_b32_e32 v16, v5, v1
	v_lshrrev_b64 v[1:2], v21, v[5:6]
	s_delay_alu instid0(VALU_DEP_2) | instskip(NEXT) | instid1(VALU_DEP_2)
	v_cmp_eq_u64_e64 s0, v[16:17], v[25:26]
	v_dual_mov_b32 v17, v2 :: v_dual_mov_b32 v16, v1
	s_delay_alu instid0(VALU_DEP_2)
	s_and_saveexec_b32 s34, s0
; %bb.101:                              ;   in Loop: Header=BB0_88 Depth=2
	v_bfe_u32 v5, v1, 20, 1
	s_delay_alu instid0(VALU_DEP_1) | instskip(NEXT) | instid1(VALU_DEP_1)
	v_add_co_u32 v5, s0, v1, v5
	v_add_co_u32 v16, s0, v5, -1
; %bb.102:                              ;   in Loop: Header=BB0_88 Depth=2
	s_or_b32 exec_lo, exec_lo, s34
	v_add_nc_u32_e32 v5, 0xffffff81, v19
	v_lshrrev_b32_e32 v17, 23, v1
	s_mov_b32 s0, exec_lo
	s_delay_alu instid0(VALU_DEP_2) | instskip(NEXT) | instid1(VALU_DEP_1)
	v_cndmask_b32_e64 v5, v5, 0xffffff82, vcc_lo
	v_add3_u32 v17, v21, v5, v17
	v_and_b32_e32 v5, 0xfffff, v16
	s_delay_alu instid0(VALU_DEP_2) | instskip(NEXT) | instid1(VALU_DEP_2)
	v_add_nc_u32_e32 v16, 7, v17
	v_add_co_u32 v1, vcc_lo, v5, v1
	v_add_co_ci_u32_e32 v2, vcc_lo, 0, v2, vcc_lo
                                        ; implicit-def: $vgpr5
	s_delay_alu instid0(VALU_DEP_3)
	v_cmpx_ne_u32_e32 0, v16
	s_xor_b32 s0, exec_lo, s0
; %bb.103:                              ;   in Loop: Header=BB0_88 Depth=2
	s_delay_alu instid0(VALU_DEP_2) | instskip(SKIP_1) | instid1(VALU_DEP_1)
	v_cmp_lt_u64_e32 vcc_lo, 0xffffff, v[1:2]
	v_add_nc_u32_e32 v5, 8, v17
	v_cndmask_b32_e32 v5, v16, v5, vcc_lo
	v_cndmask_b32_e64 v16, 0, 1, vcc_lo
	s_delay_alu instid0(VALU_DEP_1)
	v_lshrrev_b64 v[1:2], v16, v[1:2]
; %bb.104:                              ;   in Loop: Header=BB0_88 Depth=2
	s_and_not1_saveexec_b32 s0, s0
; %bb.105:                              ;   in Loop: Header=BB0_88 Depth=2
	s_delay_alu instid0(VALU_DEP_1)
	v_bfe_u32 v5, v1, 23, 1
; %bb.106:                              ;   in Loop: Header=BB0_88 Depth=2
	s_or_b32 exec_lo, exec_lo, s0
	s_delay_alu instid0(VALU_DEP_2) | instskip(NEXT) | instid1(VALU_DEP_2)
	v_lshrrev_b64 v[1:2], 20, v[1:2]
	v_cmp_gt_i32_e32 vcc_lo, 16, v5
	v_min_i32_e32 v16, 15, v5
	v_and_b32_e32 v17, 0x80, v20
	v_cmp_eq_u32_e64 s0, 0, v5
	v_dual_cndmask_b32 v2, 0, v2 :: v_dual_cndmask_b32 v1, 7, v1
	s_delay_alu instid0(VALU_DEP_4) | instskip(NEXT) | instid1(VALU_DEP_2)
	v_lshlrev_b32_e32 v16, 3, v16
	v_and_b32_e32 v19, 7, v1
	s_delay_alu instid0(VALU_DEP_3) | instskip(NEXT) | instid1(VALU_DEP_2)
	v_cmp_eq_u64_e32 vcc_lo, 0, v[1:2]
	v_or3_b32 v1, v16, v17, v19
	s_and_b32 s0, s0, vcc_lo
	s_delay_alu instid0(VALU_DEP_1) | instid1(SALU_CYCLE_1)
	v_cndmask_b32_e64 v19, v1, 0, s0
.LBB0_107:                              ;   in Loop: Header=BB0_88 Depth=2
	s_or_b32 exec_lo, exec_lo, s33
.LBB0_108:                              ;   in Loop: Header=BB0_88 Depth=2
	s_delay_alu instid0(SALU_CYCLE_1) | instskip(SKIP_2) | instid1(VALU_DEP_2)
	s_or_b32 exec_lo, exec_lo, s31
	v_div_scale_f32 v1, null, s10, s10, v3
	v_div_scale_f32 v16, vcc_lo, v3, s10, v3
	v_rcp_f32_e32 v2, v1
	s_waitcnt_depctr 0xfff
	v_fma_f32 v5, -v1, v2, 1.0
	s_delay_alu instid0(VALU_DEP_1) | instskip(NEXT) | instid1(VALU_DEP_1)
	v_fmac_f32_e32 v2, v5, v2
	v_mul_f32_e32 v5, v16, v2
	s_delay_alu instid0(VALU_DEP_1) | instskip(NEXT) | instid1(VALU_DEP_1)
	v_fma_f32 v17, -v1, v5, v16
	v_fmac_f32_e32 v5, v17, v2
	s_delay_alu instid0(VALU_DEP_1) | instskip(NEXT) | instid1(VALU_DEP_1)
	v_fma_f32 v1, -v1, v5, v16
	v_div_fmas_f32 v1, v1, v2, v5
	s_delay_alu instid0(VALU_DEP_1) | instskip(NEXT) | instid1(VALU_DEP_1)
	v_div_fixup_f32 v1, v1, s10, v3
	v_and_b32_e32 v5, 0x7f800000, v1
	v_lshrrev_b32_e32 v3, 24, v1
	s_delay_alu instid0(VALU_DEP_2) | instskip(SKIP_1) | instid1(VALU_DEP_3)
	v_cmp_ne_u64_e32 vcc_lo, 0x7f800000, v[5:6]
	v_and_b32_e32 v5, 0x7fffffff, v1
	v_or_b32_e32 v16, 0x7f, v3
	s_delay_alu instid0(VALU_DEP_2) | instskip(NEXT) | instid1(VALU_DEP_1)
	v_cmp_gt_u64_e64 s0, 0x43700001, v[5:6]
	s_and_b32 s0, vcc_lo, s0
	s_delay_alu instid0(SALU_CYCLE_1)
	s_and_saveexec_b32 s31, s0
	s_cbranch_execz .LBB0_118
; %bb.109:                              ;   in Loop: Header=BB0_88 Depth=2
	v_mov_b32_e32 v16, 0
	s_mov_b32 s33, exec_lo
	v_cmpx_ne_u32_e32 0, v1
	s_cbranch_execz .LBB0_117
; %bb.110:                              ;   in Loop: Header=BB0_88 Depth=2
	v_bfe_u32 v20, v1, 23, 8
	v_and_b32_e32 v5, 0x7fffff, v1
	v_mov_b32_e32 v17, v6
	s_delay_alu instid0(VALU_DEP_3) | instskip(SKIP_1) | instid1(VALU_DEP_4)
	v_sub_nc_u32_e32 v2, 0x78, v20
	v_cmp_gt_u32_e32 vcc_lo, 0x79, v20
	v_or_b32_e32 v16, 0x800000, v5
	s_delay_alu instid0(VALU_DEP_3) | instskip(SKIP_1) | instid1(VALU_DEP_2)
	v_cndmask_b32_e32 v2, 0, v2, vcc_lo
	v_cmp_eq_u32_e32 vcc_lo, 0, v20
	v_cndmask_b32_e64 v21, v2, 0x77, vcc_lo
	s_delay_alu instid0(VALU_DEP_4) | instskip(NEXT) | instid1(VALU_DEP_2)
	v_cndmask_b32_e32 v5, v16, v5, vcc_lo
	v_add_nc_u32_e32 v1, 20, v21
	s_delay_alu instid0(VALU_DEP_1) | instskip(SKIP_1) | instid1(VALU_DEP_2)
	v_lshlrev_b64 v[1:2], v1, -1
	v_add_nc_u32_e32 v2, 19, v21
	v_not_b32_e32 v1, v1
	s_delay_alu instid0(VALU_DEP_2) | instskip(NEXT) | instid1(VALU_DEP_2)
	v_lshlrev_b64 v[25:26], v2, 1
	v_and_b32_e32 v16, v5, v1
	v_lshrrev_b64 v[1:2], v21, v[5:6]
	s_delay_alu instid0(VALU_DEP_2) | instskip(NEXT) | instid1(VALU_DEP_2)
	v_cmp_eq_u64_e64 s0, v[16:17], v[25:26]
	v_dual_mov_b32 v17, v2 :: v_dual_mov_b32 v16, v1
	s_delay_alu instid0(VALU_DEP_2)
	s_and_saveexec_b32 s34, s0
; %bb.111:                              ;   in Loop: Header=BB0_88 Depth=2
	v_bfe_u32 v5, v1, 20, 1
	s_delay_alu instid0(VALU_DEP_1) | instskip(NEXT) | instid1(VALU_DEP_1)
	v_add_co_u32 v5, s0, v1, v5
	v_add_co_u32 v16, s0, v5, -1
; %bb.112:                              ;   in Loop: Header=BB0_88 Depth=2
	s_or_b32 exec_lo, exec_lo, s34
	v_add_nc_u32_e32 v5, 0xffffff81, v20
	v_lshrrev_b32_e32 v17, 23, v1
	s_mov_b32 s0, exec_lo
	s_delay_alu instid0(VALU_DEP_2) | instskip(NEXT) | instid1(VALU_DEP_1)
	v_cndmask_b32_e64 v5, v5, 0xffffff82, vcc_lo
	v_add3_u32 v17, v21, v5, v17
	v_and_b32_e32 v5, 0xfffff, v16
	s_delay_alu instid0(VALU_DEP_2) | instskip(NEXT) | instid1(VALU_DEP_2)
	v_add_nc_u32_e32 v16, 7, v17
	v_add_co_u32 v1, vcc_lo, v5, v1
	v_add_co_ci_u32_e32 v2, vcc_lo, 0, v2, vcc_lo
                                        ; implicit-def: $vgpr5
	s_delay_alu instid0(VALU_DEP_3)
	v_cmpx_ne_u32_e32 0, v16
	s_xor_b32 s0, exec_lo, s0
; %bb.113:                              ;   in Loop: Header=BB0_88 Depth=2
	s_delay_alu instid0(VALU_DEP_2) | instskip(SKIP_1) | instid1(VALU_DEP_1)
	v_cmp_lt_u64_e32 vcc_lo, 0xffffff, v[1:2]
	v_add_nc_u32_e32 v5, 8, v17
	v_cndmask_b32_e32 v5, v16, v5, vcc_lo
	v_cndmask_b32_e64 v16, 0, 1, vcc_lo
	s_delay_alu instid0(VALU_DEP_1)
	v_lshrrev_b64 v[1:2], v16, v[1:2]
; %bb.114:                              ;   in Loop: Header=BB0_88 Depth=2
	s_and_not1_saveexec_b32 s0, s0
; %bb.115:                              ;   in Loop: Header=BB0_88 Depth=2
	s_delay_alu instid0(VALU_DEP_1)
	v_bfe_u32 v5, v1, 23, 1
; %bb.116:                              ;   in Loop: Header=BB0_88 Depth=2
	s_or_b32 exec_lo, exec_lo, s0
	s_delay_alu instid0(VALU_DEP_2) | instskip(NEXT) | instid1(VALU_DEP_2)
	v_lshrrev_b64 v[1:2], 20, v[1:2]
	v_cmp_gt_i32_e32 vcc_lo, 16, v5
	v_min_i32_e32 v16, 15, v5
	v_and_b32_e32 v3, 0x80, v3
	v_cmp_eq_u32_e64 s0, 0, v5
	v_dual_cndmask_b32 v2, 0, v2 :: v_dual_cndmask_b32 v1, 7, v1
	s_delay_alu instid0(VALU_DEP_4) | instskip(NEXT) | instid1(VALU_DEP_2)
	v_lshlrev_b32_e32 v16, 3, v16
	v_and_b32_e32 v17, 7, v1
	s_delay_alu instid0(VALU_DEP_3) | instskip(NEXT) | instid1(VALU_DEP_2)
	v_cmp_eq_u64_e32 vcc_lo, 0, v[1:2]
	v_or3_b32 v1, v16, v3, v17
	s_and_b32 s0, s0, vcc_lo
	s_delay_alu instid0(VALU_DEP_1) | instid1(SALU_CYCLE_1)
	v_cndmask_b32_e64 v16, v1, 0, s0
.LBB0_117:                              ;   in Loop: Header=BB0_88 Depth=2
	s_or_b32 exec_lo, exec_lo, s33
.LBB0_118:                              ;   in Loop: Header=BB0_88 Depth=2
	s_delay_alu instid0(SALU_CYCLE_1) | instskip(SKIP_2) | instid1(VALU_DEP_2)
	s_or_b32 exec_lo, exec_lo, s31
	v_div_scale_f32 v1, null, s10, s10, v4
	v_div_scale_f32 v5, vcc_lo, v4, s10, v4
	v_rcp_f32_e32 v2, v1
	s_waitcnt_depctr 0xfff
	v_fma_f32 v3, -v1, v2, 1.0
	s_delay_alu instid0(VALU_DEP_1) | instskip(NEXT) | instid1(VALU_DEP_1)
	v_fmac_f32_e32 v2, v3, v2
	v_mul_f32_e32 v3, v5, v2
	s_delay_alu instid0(VALU_DEP_1) | instskip(NEXT) | instid1(VALU_DEP_1)
	v_fma_f32 v17, -v1, v3, v5
	v_fmac_f32_e32 v3, v17, v2
	s_delay_alu instid0(VALU_DEP_1) | instskip(NEXT) | instid1(VALU_DEP_1)
	v_fma_f32 v1, -v1, v3, v5
	v_div_fmas_f32 v1, v1, v2, v3
	s_delay_alu instid0(VALU_DEP_1) | instskip(NEXT) | instid1(VALU_DEP_1)
	v_div_fixup_f32 v1, v1, s10, v4
	v_and_b32_e32 v5, 0x7f800000, v1
	v_lshrrev_b32_e32 v17, 24, v1
	s_delay_alu instid0(VALU_DEP_2) | instskip(SKIP_1) | instid1(VALU_DEP_3)
	v_cmp_ne_u64_e32 vcc_lo, 0x7f800000, v[5:6]
	v_and_b32_e32 v5, 0x7fffffff, v1
	v_or_b32_e32 v2, 0x7f, v17
	s_delay_alu instid0(VALU_DEP_2) | instskip(NEXT) | instid1(VALU_DEP_1)
	v_cmp_gt_u64_e64 s0, 0x43700001, v[5:6]
	s_and_b32 s0, vcc_lo, s0
	s_delay_alu instid0(SALU_CYCLE_1)
	s_and_saveexec_b32 s31, s0
	s_cbranch_execz .LBB0_87
; %bb.119:                              ;   in Loop: Header=BB0_88 Depth=2
	v_mov_b32_e32 v2, 0
	s_mov_b32 s33, exec_lo
	v_cmpx_ne_u32_e32 0, v1
	s_cbranch_execz .LBB0_86
; %bb.120:                              ;   in Loop: Header=BB0_88 Depth=2
	v_bfe_u32 v20, v1, 23, 8
	v_and_b32_e32 v3, 0x7fffff, v1
	s_delay_alu instid0(VALU_DEP_2) | instskip(SKIP_1) | instid1(VALU_DEP_3)
	v_sub_nc_u32_e32 v2, 0x78, v20
	v_cmp_gt_u32_e32 vcc_lo, 0x79, v20
	v_or_b32_e32 v4, 0x800000, v3
	s_delay_alu instid0(VALU_DEP_3) | instskip(SKIP_1) | instid1(VALU_DEP_2)
	v_cndmask_b32_e32 v2, 0, v2, vcc_lo
	v_cmp_eq_u32_e32 vcc_lo, 0, v20
	v_cndmask_b32_e64 v21, v2, 0x77, vcc_lo
	s_delay_alu instid0(VALU_DEP_4) | instskip(NEXT) | instid1(VALU_DEP_2)
	v_dual_cndmask_b32 v5, v4, v3 :: v_dual_mov_b32 v4, v6
	v_add_nc_u32_e32 v1, 20, v21
	s_delay_alu instid0(VALU_DEP_1) | instskip(SKIP_1) | instid1(VALU_DEP_2)
	v_lshlrev_b64 v[1:2], v1, -1
	v_add_nc_u32_e32 v2, 19, v21
	v_not_b32_e32 v1, v1
	s_delay_alu instid0(VALU_DEP_2) | instskip(NEXT) | instid1(VALU_DEP_2)
	v_lshlrev_b64 v[25:26], v2, 1
	v_and_b32_e32 v3, v5, v1
	v_lshrrev_b64 v[1:2], v21, v[5:6]
	s_delay_alu instid0(VALU_DEP_2) | instskip(NEXT) | instid1(VALU_DEP_2)
	v_cmp_eq_u64_e64 s0, v[3:4], v[25:26]
	v_dual_mov_b32 v4, v2 :: v_dual_mov_b32 v3, v1
	s_delay_alu instid0(VALU_DEP_2)
	s_and_saveexec_b32 s34, s0
; %bb.121:                              ;   in Loop: Header=BB0_88 Depth=2
	v_bfe_u32 v3, v1, 20, 1
	s_delay_alu instid0(VALU_DEP_1) | instskip(NEXT) | instid1(VALU_DEP_1)
	v_add_co_u32 v3, s0, v1, v3
	v_add_co_u32 v3, s0, v3, -1
; %bb.122:                              ;   in Loop: Header=BB0_88 Depth=2
	s_or_b32 exec_lo, exec_lo, s34
	v_add_nc_u32_e32 v4, 0xffffff81, v20
	v_lshrrev_b32_e32 v5, 23, v1
	s_delay_alu instid0(VALU_DEP_3) | instskip(SKIP_1) | instid1(VALU_DEP_3)
	v_and_b32_e32 v3, 0xfffff, v3
	s_mov_b32 s0, exec_lo
	v_cndmask_b32_e64 v4, v4, 0xffffff82, vcc_lo
	s_delay_alu instid0(VALU_DEP_2) | instskip(SKIP_1) | instid1(VALU_DEP_3)
	v_add_co_u32 v1, vcc_lo, v3, v1
	v_add_co_ci_u32_e32 v2, vcc_lo, 0, v2, vcc_lo
	v_add3_u32 v4, v21, v4, v5
                                        ; implicit-def: $vgpr3
	s_delay_alu instid0(VALU_DEP_1) | instskip(NEXT) | instid1(VALU_DEP_1)
	v_add_nc_u32_e32 v5, 7, v4
	v_cmpx_ne_u32_e32 0, v5
	s_xor_b32 s0, exec_lo, s0
; %bb.123:                              ;   in Loop: Header=BB0_88 Depth=2
	v_cmp_lt_u64_e32 vcc_lo, 0xffffff, v[1:2]
	v_add_nc_u32_e32 v3, 8, v4
	v_cndmask_b32_e64 v4, 0, 1, vcc_lo
	s_delay_alu instid0(VALU_DEP_2) | instskip(NEXT) | instid1(VALU_DEP_2)
	v_cndmask_b32_e32 v3, v5, v3, vcc_lo
	v_lshrrev_b64 v[1:2], v4, v[1:2]
; %bb.124:                              ;   in Loop: Header=BB0_88 Depth=2
	s_and_not1_saveexec_b32 s0, s0
	s_cbranch_execz .LBB0_85
; %bb.125:                              ;   in Loop: Header=BB0_88 Depth=2
	s_delay_alu instid0(VALU_DEP_1)
	v_bfe_u32 v3, v1, 23, 1
	s_branch .LBB0_85
.LBB0_126:                              ;   in Loop: Header=BB0_7 Depth=1
	s_or_b32 exec_lo, exec_lo, s29
	s_delay_alu instid0(SALU_CYCLE_1)
	s_and_not1_b32 vcc_lo, exec_lo, s19
	s_cbranch_vccnz .LBB0_6
; %bb.127:                              ;   in Loop: Header=BB0_7 Depth=1
	v_mul_lo_u32 v1, v11, s8
	v_add_co_u32 v2, vcc_lo, s15, v23
	v_add_co_ci_u32_e32 v3, vcc_lo, s18, v24, vcc_lo
	v_add_co_u32 v5, vcc_lo, s13, v9
	v_add_co_ci_u32_e32 v9, vcc_lo, s14, v10, vcc_lo
	v_ashrrev_i32_e32 v4, 31, v1
	v_add_co_u32 v10, vcc_lo, v2, v1
	s_mov_b32 s29, 0
	s_mov_b32 s30, s9
	s_delay_alu instid0(VALU_DEP_2) | instskip(SKIP_3) | instid1(VALU_DEP_4)
	v_add_co_ci_u32_e32 v3, vcc_lo, v3, v4, vcc_lo
	v_add_co_u32 v1, vcc_lo, v5, v7
	v_add_co_ci_u32_e32 v2, vcc_lo, v9, v8, vcc_lo
	v_add_co_u32 v9, vcc_lo, v10, s23
	v_add_co_ci_u32_e32 v10, vcc_lo, s28, v3, vcc_lo
	s_branch .LBB0_132
.LBB0_128:                              ;   in Loop: Header=BB0_132 Depth=2
	s_or_b32 exec_lo, exec_lo, s0
	s_delay_alu instid0(VALU_DEP_1) | instskip(NEXT) | instid1(VALU_DEP_2)
	v_lshrrev_b64 v[3:4], 20, v[3:4]
	v_cmp_gt_i32_e32 vcc_lo, 16, v5
	v_and_b32_e32 v7, 0x80, v11
	v_min_i32_e32 v8, 15, v5
	v_cmp_eq_u32_e64 s0, 0, v5
	v_dual_cndmask_b32 v4, 0, v4 :: v_dual_cndmask_b32 v3, 7, v3
	s_delay_alu instid0(VALU_DEP_3) | instskip(NEXT) | instid1(VALU_DEP_2)
	v_lshl_or_b32 v7, v8, 3, v7
	v_cmp_eq_u64_e32 vcc_lo, 0, v[3:4]
	s_delay_alu instid0(VALU_DEP_2)
	v_and_or_b32 v3, v3, 7, v7
	s_and_b32 s0, s0, vcc_lo
	s_delay_alu instid0(VALU_DEP_1) | instid1(SALU_CYCLE_1)
	v_cndmask_b32_e64 v3, v3, 0, s0
.LBB0_129:                              ;   in Loop: Header=BB0_132 Depth=2
	s_or_b32 exec_lo, exec_lo, s34
.LBB0_130:                              ;   in Loop: Header=BB0_132 Depth=2
	s_and_not1_saveexec_b32 s0, s33
	s_delay_alu instid0(SALU_CYCLE_1)
	s_or_b32 exec_lo, exec_lo, s0
.LBB0_131:                              ;   in Loop: Header=BB0_132 Depth=2
	s_and_not1_saveexec_b32 s0, s31
	s_delay_alu instid0(SALU_CYCLE_1)
	s_or_b32 exec_lo, exec_lo, s0
	s_ashr_i32 s0, s29, 31
	v_add_co_u32 v4, vcc_lo, v9, s29
	v_add_co_ci_u32_e32 v5, vcc_lo, s0, v10, vcc_lo
	v_add_co_u32 v1, vcc_lo, v1, 4
	v_add_co_ci_u32_e32 v2, vcc_lo, 0, v2, vcc_lo
	s_add_i32 s30, s30, -1
	s_add_i32 s29, s29, s8
	s_cmp_eq_u32 s30, 0
	global_store_b8 v[4:5], v3, off
	s_cbranch_scc1 .LBB0_6
.LBB0_132:                              ;   Parent Loop BB0_7 Depth=1
                                        ; =>  This Inner Loop Header: Depth=2
	global_load_b32 v3, v[1:2], off
	s_mov_b32 s0, exec_lo
	s_waitcnt vmcnt(0)
	v_div_scale_f32 v4, null, s11, s11, v3
	s_delay_alu instid0(VALU_DEP_1) | instskip(SKIP_2) | instid1(VALU_DEP_1)
	v_rcp_f32_e32 v5, v4
	s_waitcnt_depctr 0xfff
	v_fma_f32 v7, -v4, v5, 1.0
	v_fmac_f32_e32 v5, v7, v5
	v_div_scale_f32 v7, vcc_lo, v3, s11, v3
	s_delay_alu instid0(VALU_DEP_1) | instskip(NEXT) | instid1(VALU_DEP_1)
	v_mul_f32_e32 v8, v7, v5
	v_fma_f32 v11, -v4, v8, v7
	s_delay_alu instid0(VALU_DEP_1) | instskip(NEXT) | instid1(VALU_DEP_1)
	v_fmac_f32_e32 v8, v11, v5
	v_fma_f32 v4, -v4, v8, v7
	s_delay_alu instid0(VALU_DEP_1) | instskip(NEXT) | instid1(VALU_DEP_1)
	v_div_fmas_f32 v4, v4, v5, v8
	v_div_fixup_f32 v4, v4, s11, v3
	s_delay_alu instid0(VALU_DEP_1) | instskip(SKIP_1) | instid1(VALU_DEP_1)
	v_and_b32_e32 v5, 0x7f800000, v4
	v_lshrrev_b32_e32 v11, 24, v4
	v_or_b32_e32 v3, 0x7f, v11
	s_delay_alu instid0(VALU_DEP_3)
	v_cmpx_ne_u64_e32 0x7f800000, v[5:6]
	s_xor_b32 s31, exec_lo, s0
	s_cbranch_execz .LBB0_131
; %bb.133:                              ;   in Loop: Header=BB0_132 Depth=2
	v_and_b32_e32 v5, 0x7fffffff, v4
	s_mov_b32 s0, exec_lo
	s_delay_alu instid0(VALU_DEP_1)
	v_cmpx_gt_u64_e32 0x43700001, v[5:6]
	s_xor_b32 s33, exec_lo, s0
	s_cbranch_execz .LBB0_130
; %bb.134:                              ;   in Loop: Header=BB0_132 Depth=2
	v_mov_b32_e32 v3, 0
	s_mov_b32 s34, exec_lo
	v_cmpx_ne_u32_e32 0, v4
	s_cbranch_execz .LBB0_129
; %bb.135:                              ;   in Loop: Header=BB0_132 Depth=2
	v_bfe_u32 v12, v4, 23, 8
	v_dual_mov_b32 v8, v6 :: v_dual_and_b32 v5, 0x7fffff, v4
	s_delay_alu instid0(VALU_DEP_2) | instskip(SKIP_1) | instid1(VALU_DEP_3)
	v_sub_nc_u32_e32 v3, 0x78, v12
	v_cmp_gt_u32_e32 vcc_lo, 0x79, v12
	v_or_b32_e32 v7, 0x800000, v5
	s_delay_alu instid0(VALU_DEP_3) | instskip(SKIP_1) | instid1(VALU_DEP_2)
	v_cndmask_b32_e32 v3, 0, v3, vcc_lo
	v_cmp_eq_u32_e32 vcc_lo, 0, v12
	v_cndmask_b32_e64 v13, v3, 0x77, vcc_lo
	s_delay_alu instid0(VALU_DEP_4) | instskip(NEXT) | instid1(VALU_DEP_2)
	v_cndmask_b32_e32 v5, v7, v5, vcc_lo
	v_add_nc_u32_e32 v3, 20, v13
	s_delay_alu instid0(VALU_DEP_1) | instskip(SKIP_1) | instid1(VALU_DEP_2)
	v_lshlrev_b64 v[3:4], v3, -1
	v_add_nc_u32_e32 v4, 19, v13
	v_not_b32_e32 v3, v3
	s_delay_alu instid0(VALU_DEP_2) | instskip(NEXT) | instid1(VALU_DEP_2)
	v_lshlrev_b64 v[14:15], v4, 1
	v_and_b32_e32 v7, v5, v3
	v_lshrrev_b64 v[3:4], v13, v[5:6]
	s_delay_alu instid0(VALU_DEP_2) | instskip(NEXT) | instid1(VALU_DEP_2)
	v_cmp_eq_u64_e64 s0, v[7:8], v[14:15]
	v_dual_mov_b32 v8, v4 :: v_dual_mov_b32 v7, v3
	s_delay_alu instid0(VALU_DEP_2)
	s_and_saveexec_b32 s35, s0
; %bb.136:                              ;   in Loop: Header=BB0_132 Depth=2
	v_bfe_u32 v5, v3, 20, 1
	s_delay_alu instid0(VALU_DEP_1) | instskip(NEXT) | instid1(VALU_DEP_1)
	v_add_co_u32 v5, s0, v3, v5
	v_add_co_u32 v7, s0, v5, -1
; %bb.137:                              ;   in Loop: Header=BB0_132 Depth=2
	s_or_b32 exec_lo, exec_lo, s35
	v_add_nc_u32_e32 v5, 0xffffff81, v12
	v_lshrrev_b32_e32 v8, 23, v3
	s_mov_b32 s0, exec_lo
	s_delay_alu instid0(VALU_DEP_2) | instskip(NEXT) | instid1(VALU_DEP_1)
	v_cndmask_b32_e64 v5, v5, 0xffffff82, vcc_lo
	v_add3_u32 v8, v13, v5, v8
	v_and_b32_e32 v5, 0xfffff, v7
	s_delay_alu instid0(VALU_DEP_2) | instskip(NEXT) | instid1(VALU_DEP_2)
	v_add_nc_u32_e32 v7, 7, v8
	v_add_co_u32 v3, vcc_lo, v5, v3
	v_add_co_ci_u32_e32 v4, vcc_lo, 0, v4, vcc_lo
                                        ; implicit-def: $vgpr5
	s_delay_alu instid0(VALU_DEP_3)
	v_cmpx_ne_u32_e32 0, v7
	s_xor_b32 s0, exec_lo, s0
; %bb.138:                              ;   in Loop: Header=BB0_132 Depth=2
	s_delay_alu instid0(VALU_DEP_2) | instskip(SKIP_1) | instid1(VALU_DEP_1)
	v_cmp_lt_u64_e32 vcc_lo, 0xffffff, v[3:4]
	v_add_nc_u32_e32 v5, 8, v8
	v_cndmask_b32_e32 v5, v7, v5, vcc_lo
	v_cndmask_b32_e64 v7, 0, 1, vcc_lo
	s_delay_alu instid0(VALU_DEP_1)
	v_lshrrev_b64 v[3:4], v7, v[3:4]
; %bb.139:                              ;   in Loop: Header=BB0_132 Depth=2
	s_and_not1_saveexec_b32 s0, s0
	s_cbranch_execz .LBB0_128
; %bb.140:                              ;   in Loop: Header=BB0_132 Depth=2
	s_delay_alu instid0(VALU_DEP_1)
	v_bfe_u32 v5, v3, 23, 1
	s_branch .LBB0_128
.LBB0_141:
	s_nop 0
	s_sendmsg sendmsg(MSG_DEALLOC_VGPRS)
	s_endpgm
.LBB0_142:
                                        ; implicit-def: $sgpr24_sgpr25
	s_branch .LBB0_3
	.section	.rodata,"a",@progbits
	.p2align	6, 0x0
	.amdhsa_kernel _Z24reshape_and_cache_kernelIfhL18Fp8KVCacheDataType1EEvPKT_S3_PT0_S5_PKliiiiiiff
		.amdhsa_group_segment_fixed_size 0
		.amdhsa_private_segment_fixed_size 0
		.amdhsa_kernarg_size 328
		.amdhsa_user_sgpr_count 15
		.amdhsa_user_sgpr_dispatch_ptr 0
		.amdhsa_user_sgpr_queue_ptr 0
		.amdhsa_user_sgpr_kernarg_segment_ptr 1
		.amdhsa_user_sgpr_dispatch_id 0
		.amdhsa_user_sgpr_private_segment_size 0
		.amdhsa_wavefront_size32 1
		.amdhsa_uses_dynamic_stack 0
		.amdhsa_enable_private_segment 0
		.amdhsa_system_sgpr_workgroup_id_x 1
		.amdhsa_system_sgpr_workgroup_id_y 0
		.amdhsa_system_sgpr_workgroup_id_z 0
		.amdhsa_system_sgpr_workgroup_info 0
		.amdhsa_system_vgpr_workitem_id 0
		.amdhsa_next_free_vgpr 34
		.amdhsa_next_free_sgpr 37
		.amdhsa_reserve_vcc 1
		.amdhsa_float_round_mode_32 0
		.amdhsa_float_round_mode_16_64 0
		.amdhsa_float_denorm_mode_32 3
		.amdhsa_float_denorm_mode_16_64 3
		.amdhsa_dx10_clamp 1
		.amdhsa_ieee_mode 1
		.amdhsa_fp16_overflow 0
		.amdhsa_workgroup_processor_mode 1
		.amdhsa_memory_ordered 1
		.amdhsa_forward_progress 0
		.amdhsa_shared_vgpr_count 0
		.amdhsa_exception_fp_ieee_invalid_op 0
		.amdhsa_exception_fp_denorm_src 0
		.amdhsa_exception_fp_ieee_div_zero 0
		.amdhsa_exception_fp_ieee_overflow 0
		.amdhsa_exception_fp_ieee_underflow 0
		.amdhsa_exception_fp_ieee_inexact 0
		.amdhsa_exception_int_div_zero 0
	.end_amdhsa_kernel
	.section	.text._Z24reshape_and_cache_kernelIfhL18Fp8KVCacheDataType1EEvPKT_S3_PT0_S5_PKliiiiiiff,"axG",@progbits,_Z24reshape_and_cache_kernelIfhL18Fp8KVCacheDataType1EEvPKT_S3_PT0_S5_PKliiiiiiff,comdat
.Lfunc_end0:
	.size	_Z24reshape_and_cache_kernelIfhL18Fp8KVCacheDataType1EEvPKT_S3_PT0_S5_PKliiiiiiff, .Lfunc_end0-_Z24reshape_and_cache_kernelIfhL18Fp8KVCacheDataType1EEvPKT_S3_PT0_S5_PKliiiiiiff
                                        ; -- End function
	.section	.AMDGPU.csdata,"",@progbits
; Kernel info:
; codeLenInByte = 9476
; NumSgprs: 39
; NumVgprs: 34
; ScratchSize: 0
; MemoryBound: 0
; FloatMode: 240
; IeeeMode: 1
; LDSByteSize: 0 bytes/workgroup (compile time only)
; SGPRBlocks: 4
; VGPRBlocks: 4
; NumSGPRsForWavesPerEU: 39
; NumVGPRsForWavesPerEU: 34
; Occupancy: 16
; WaveLimiterHint : 0
; COMPUTE_PGM_RSRC2:SCRATCH_EN: 0
; COMPUTE_PGM_RSRC2:USER_SGPR: 15
; COMPUTE_PGM_RSRC2:TRAP_HANDLER: 0
; COMPUTE_PGM_RSRC2:TGID_X_EN: 1
; COMPUTE_PGM_RSRC2:TGID_Y_EN: 0
; COMPUTE_PGM_RSRC2:TGID_Z_EN: 0
; COMPUTE_PGM_RSRC2:TIDIG_COMP_CNT: 0
	.section	.text._Z24reshape_and_cache_kernelI14__hip_bfloat16hL18Fp8KVCacheDataType1EEvPKT_S4_PT0_S6_PKliiiiiiff,"axG",@progbits,_Z24reshape_and_cache_kernelI14__hip_bfloat16hL18Fp8KVCacheDataType1EEvPKT_S4_PT0_S6_PKliiiiiiff,comdat
	.protected	_Z24reshape_and_cache_kernelI14__hip_bfloat16hL18Fp8KVCacheDataType1EEvPKT_S4_PT0_S6_PKliiiiiiff ; -- Begin function _Z24reshape_and_cache_kernelI14__hip_bfloat16hL18Fp8KVCacheDataType1EEvPKT_S4_PT0_S6_PKliiiiiiff
	.globl	_Z24reshape_and_cache_kernelI14__hip_bfloat16hL18Fp8KVCacheDataType1EEvPKT_S4_PT0_S6_PKliiiiiiff
	.p2align	8
	.type	_Z24reshape_and_cache_kernelI14__hip_bfloat16hL18Fp8KVCacheDataType1EEvPKT_S4_PT0_S6_PKliiiiiiff,@function
_Z24reshape_and_cache_kernelI14__hip_bfloat16hL18Fp8KVCacheDataType1EEvPKT_S4_PT0_S6_PKliiiiiiff: ; @_Z24reshape_and_cache_kernelI14__hip_bfloat16hL18Fp8KVCacheDataType1EEvPKT_S4_PT0_S6_PKliiiiiiff
; %bb.0:
	s_load_b64 s[2:3], s[0:1], 0x20
	s_mov_b32 s20, s15
	s_mov_b32 s21, 0
	s_delay_alu instid0(SALU_CYCLE_1)
	s_lshl_b64 s[4:5], s[20:21], 3
	s_waitcnt lgkmcnt(0)
	s_add_u32 s2, s2, s4
	s_addc_u32 s3, s3, s5
	s_load_b64 s[2:3], s[2:3], 0x0
	s_waitcnt lgkmcnt(0)
	v_cmp_lt_i64_e64 s4, s[2:3], 0
	s_delay_alu instid0(VALU_DEP_1)
	s_and_b32 vcc_lo, exec_lo, s4
	s_cbranch_vccnz .LBB1_253
; %bb.1:
	s_load_b256 s[4:11], s[0:1], 0x28
	s_waitcnt lgkmcnt(0)
	s_ashr_i32 s23, s8, 31
	s_mov_b32 s22, s8
	s_delay_alu instid0(SALU_CYCLE_1) | instskip(SKIP_1) | instid1(SALU_CYCLE_1)
	s_or_b64 s[12:13], s[2:3], s[22:23]
	s_mov_b32 s12, s21
	s_cmp_lg_u64 s[12:13], 0
	s_cbranch_scc0 .LBB1_254
; %bb.2:
	s_add_u32 s14, s22, s23
	s_mov_b32 s12, s23
	s_mov_b32 s13, s23
	s_addc_u32 s15, s23, s23
	s_delay_alu instid0(SALU_CYCLE_1) | instskip(NEXT) | instid1(SALU_CYCLE_1)
	s_xor_b64 s[14:15], s[14:15], s[12:13]
	v_cvt_f32_u32_e32 v1, s14
	v_cvt_f32_u32_e32 v2, s15
	s_sub_u32 s18, 0, s14
	s_subb_u32 s19, 0, s15
	s_delay_alu instid0(VALU_DEP_1) | instskip(NEXT) | instid1(VALU_DEP_1)
	v_fmamk_f32 v1, v2, 0x4f800000, v1
	v_rcp_f32_e32 v1, v1
	s_waitcnt_depctr 0xfff
	v_mul_f32_e32 v1, 0x5f7ffffc, v1
	s_delay_alu instid0(VALU_DEP_1) | instskip(NEXT) | instid1(VALU_DEP_1)
	v_mul_f32_e32 v2, 0x2f800000, v1
	v_trunc_f32_e32 v2, v2
	s_delay_alu instid0(VALU_DEP_1) | instskip(SKIP_1) | instid1(VALU_DEP_2)
	v_fmamk_f32 v1, v2, 0xcf800000, v1
	v_cvt_u32_f32_e32 v2, v2
	v_cvt_u32_f32_e32 v1, v1
	s_delay_alu instid0(VALU_DEP_2) | instskip(NEXT) | instid1(VALU_DEP_2)
	v_readfirstlane_b32 s16, v2
	v_readfirstlane_b32 s17, v1
	s_delay_alu instid0(VALU_DEP_2) | instskip(NEXT) | instid1(VALU_DEP_1)
	s_mul_i32 s21, s18, s16
	s_mul_hi_u32 s25, s18, s17
	s_mul_i32 s24, s19, s17
	s_add_i32 s21, s25, s21
	s_mul_i32 s26, s18, s17
	s_add_i32 s21, s21, s24
	s_mul_hi_u32 s25, s17, s26
	s_mul_hi_u32 s27, s16, s26
	s_mul_i32 s24, s16, s26
	s_mul_hi_u32 s26, s17, s21
	s_mul_i32 s17, s17, s21
	s_mul_hi_u32 s28, s16, s21
	s_add_u32 s17, s25, s17
	s_addc_u32 s25, 0, s26
	s_add_u32 s17, s17, s24
	s_mul_i32 s21, s16, s21
	s_addc_u32 s17, s25, s27
	s_addc_u32 s24, s28, 0
	s_add_u32 s17, s17, s21
	s_addc_u32 s21, 0, s24
	v_add_co_u32 v1, s17, v1, s17
	s_delay_alu instid0(VALU_DEP_1) | instskip(SKIP_1) | instid1(VALU_DEP_1)
	s_cmp_lg_u32 s17, 0
	s_addc_u32 s16, s16, s21
	v_readfirstlane_b32 s17, v1
	s_mul_i32 s21, s18, s16
	s_delay_alu instid0(VALU_DEP_1)
	s_mul_hi_u32 s24, s18, s17
	s_mul_i32 s19, s19, s17
	s_add_i32 s21, s24, s21
	s_mul_i32 s18, s18, s17
	s_add_i32 s21, s21, s19
	s_mul_hi_u32 s24, s16, s18
	s_mul_i32 s25, s16, s18
	s_mul_hi_u32 s18, s17, s18
	s_mul_hi_u32 s26, s17, s21
	s_mul_i32 s17, s17, s21
	s_mul_hi_u32 s19, s16, s21
	s_add_u32 s17, s18, s17
	s_addc_u32 s18, 0, s26
	s_add_u32 s17, s17, s25
	s_mul_i32 s21, s16, s21
	s_addc_u32 s17, s18, s24
	s_addc_u32 s18, s19, 0
	s_add_u32 s17, s17, s21
	s_addc_u32 s18, 0, s18
	v_add_co_u32 v1, s17, v1, s17
	s_delay_alu instid0(VALU_DEP_1) | instskip(SKIP_2) | instid1(VALU_DEP_1)
	s_cmp_lg_u32 s17, 0
	s_addc_u32 s21, s16, s18
	s_ashr_i32 s16, s3, 31
	v_readfirstlane_b32 s24, v1
	s_add_u32 s18, s2, s16
	s_mov_b32 s17, s16
	s_addc_u32 s19, s3, s16
	s_delay_alu instid0(SALU_CYCLE_1) | instskip(NEXT) | instid1(SALU_CYCLE_1)
	s_xor_b64 s[18:19], s[18:19], s[16:17]
	s_mul_i32 s26, s18, s21
	s_mul_hi_u32 s27, s18, s24
	s_mul_hi_u32 s25, s18, s21
	;; [unrolled: 1-line block ×3, first 2 shown]
	s_mul_i32 s24, s19, s24
	s_add_u32 s26, s27, s26
	s_addc_u32 s25, 0, s25
	s_mul_hi_u32 s28, s19, s21
	s_add_u32 s24, s26, s24
	s_mul_i32 s21, s19, s21
	s_addc_u32 s24, s25, s29
	s_addc_u32 s25, s28, 0
	s_add_u32 s21, s24, s21
	s_addc_u32 s24, 0, s25
	s_mul_i32 s28, s14, s21
	s_mul_hi_u32 s25, s14, s21
	s_mul_i32 s27, s14, s24
	v_sub_co_u32 v1, s18, s18, s28
	s_mul_i32 s26, s15, s21
	s_add_i32 s25, s25, s27
	s_delay_alu instid0(SALU_CYCLE_1) | instskip(NEXT) | instid1(VALU_DEP_1)
	s_add_i32 s25, s25, s26
	v_sub_co_u32 v2, s27, v1, s14
	s_sub_i32 s26, s19, s25
	s_cmp_lg_u32 s18, 0
	s_subb_u32 s26, s26, s15
	s_cmp_lg_u32 s27, 0
	v_readfirstlane_b32 s27, v2
	s_subb_u32 s26, s26, 0
	s_delay_alu instid0(SALU_CYCLE_1) | instskip(SKIP_1) | instid1(VALU_DEP_1)
	s_cmp_ge_u32 s26, s15
	s_cselect_b32 s28, -1, 0
	s_cmp_ge_u32 s27, s14
	s_cselect_b32 s27, -1, 0
	s_cmp_eq_u32 s26, s15
	s_cselect_b32 s26, s27, s28
	s_add_u32 s27, s21, 1
	s_addc_u32 s28, s24, 0
	s_add_u32 s29, s21, 2
	s_addc_u32 s30, s24, 0
	s_cmp_lg_u32 s26, 0
	s_cselect_b32 s26, s29, s27
	s_cselect_b32 s27, s30, s28
	s_cmp_lg_u32 s18, 0
	v_readfirstlane_b32 s18, v1
	s_subb_u32 s19, s19, s25
	s_delay_alu instid0(SALU_CYCLE_1) | instskip(SKIP_1) | instid1(VALU_DEP_1)
	s_cmp_ge_u32 s19, s15
	s_cselect_b32 s25, -1, 0
	s_cmp_ge_u32 s18, s14
	s_cselect_b32 s14, -1, 0
	s_cmp_eq_u32 s19, s15
	s_cselect_b32 s14, s14, s25
	s_delay_alu instid0(SALU_CYCLE_1) | instskip(SKIP_3) | instid1(SALU_CYCLE_1)
	s_cmp_lg_u32 s14, 0
	s_cselect_b32 s15, s27, s24
	s_cselect_b32 s14, s26, s21
	s_xor_b64 s[16:17], s[16:17], s[12:13]
	s_xor_b64 s[14:15], s[14:15], s[16:17]
	s_delay_alu instid0(SALU_CYCLE_1)
	s_sub_u32 s24, s14, s16
	s_subb_u32 s25, s15, s17
	s_cbranch_execnz .LBB1_4
.LBB1_3:
	v_cvt_f32_u32_e32 v1, s22
	s_sub_i32 s13, 0, s22
	s_mov_b32 s25, 0
	s_delay_alu instid0(VALU_DEP_1) | instskip(SKIP_2) | instid1(VALU_DEP_1)
	v_rcp_iflag_f32_e32 v1, v1
	s_waitcnt_depctr 0xfff
	v_mul_f32_e32 v1, 0x4f7ffffe, v1
	v_cvt_u32_f32_e32 v1, v1
	s_delay_alu instid0(VALU_DEP_1) | instskip(NEXT) | instid1(VALU_DEP_1)
	v_readfirstlane_b32 s12, v1
	s_mul_i32 s13, s13, s12
	s_delay_alu instid0(SALU_CYCLE_1) | instskip(NEXT) | instid1(SALU_CYCLE_1)
	s_mul_hi_u32 s13, s12, s13
	s_add_i32 s12, s12, s13
	s_delay_alu instid0(SALU_CYCLE_1) | instskip(NEXT) | instid1(SALU_CYCLE_1)
	s_mul_hi_u32 s12, s2, s12
	s_mul_i32 s13, s12, s22
	s_add_i32 s14, s12, 1
	s_sub_i32 s13, s2, s13
	s_delay_alu instid0(SALU_CYCLE_1)
	s_sub_i32 s15, s13, s22
	s_cmp_ge_u32 s13, s22
	s_cselect_b32 s12, s14, s12
	s_cselect_b32 s13, s15, s13
	s_add_i32 s14, s12, 1
	s_cmp_ge_u32 s13, s22
	s_cselect_b32 s24, s14, s12
.LBB1_4:
	s_abs_i32 s12, s9
	s_abs_i32 s15, s7
	v_cvt_f32_u32_e32 v1, s12
	s_sub_i32 s14, 0, s12
	s_mov_b32 s27, 0
	s_delay_alu instid0(VALU_DEP_1) | instskip(SKIP_2) | instid1(VALU_DEP_1)
	v_rcp_iflag_f32_e32 v1, v1
	s_waitcnt_depctr 0xfff
	v_mul_f32_e32 v1, 0x4f7ffffe, v1
	v_cvt_u32_f32_e32 v1, v1
	s_delay_alu instid0(VALU_DEP_1) | instskip(NEXT) | instid1(VALU_DEP_1)
	v_readfirstlane_b32 s13, v1
	s_mul_i32 s14, s14, s13
	s_delay_alu instid0(SALU_CYCLE_1) | instskip(NEXT) | instid1(SALU_CYCLE_1)
	s_mul_hi_u32 s14, s13, s14
	s_add_i32 s13, s13, s14
	s_xor_b32 s14, s7, s9
	s_mul_hi_u32 s13, s15, s13
	s_ashr_i32 s14, s14, 31
	s_mul_i32 s16, s13, s12
	s_delay_alu instid0(SALU_CYCLE_1)
	s_sub_i32 s15, s15, s16
	s_add_i32 s16, s13, 1
	s_sub_i32 s17, s15, s12
	s_cmp_ge_u32 s15, s12
	s_cselect_b32 s13, s16, s13
	s_cselect_b32 s15, s17, s15
	s_add_i32 s16, s13, 1
	s_cmp_ge_u32 s15, s12
	s_cselect_b32 s12, s16, s13
	s_delay_alu instid0(SALU_CYCLE_1) | instskip(NEXT) | instid1(SALU_CYCLE_1)
	s_xor_b32 s12, s12, s14
	s_sub_i32 s21, s12, s14
	s_mov_b32 s12, exec_lo
	s_mul_i32 s26, s21, s6
	s_delay_alu instid0(SALU_CYCLE_1)
	v_cmpx_gt_i32_e64 s26, v0
	s_cbranch_execz .LBB1_253
; %bb.5:
	s_load_b256 s[12:19], s[0:1], 0x0
	s_mul_i32 s23, s24, s23
	s_mul_hi_u32 s28, s24, s22
	s_mul_i32 s29, s25, s22
	s_add_i32 s23, s28, s23
	s_mul_i32 s33, s24, s22
	s_add_i32 s29, s23, s29
	s_sub_u32 s23, s2, s33
	s_mul_hi_u32 s31, s4, s20
	s_mul_i32 s30, s4, s20
	s_subb_u32 s28, s3, s29
	s_ashr_i32 s4, s4, 31
	s_mul_i32 s25, s26, s25
	s_mul_i32 s4, s4, s20
	s_mul_hi_u32 s35, s26, s24
	s_add_i32 s31, s31, s4
	s_mul_hi_i32 s36, s6, s21
	s_lshl_b64 s[30:31], s[30:31], 1
	s_mul_hi_u32 s34, s5, s20
	s_load_b32 s0, s[0:1], 0x54
	s_waitcnt lgkmcnt(0)
	s_add_u32 s4, s12, s30
	s_addc_u32 s6, s13, s31
	s_ashr_i32 s12, s5, 31
	s_mul_i32 s13, s36, s24
	s_add_i32 s30, s35, s25
	s_mul_i32 s12, s12, s20
	s_add_i32 s30, s30, s13
	s_mul_i32 s13, s26, s24
	s_mul_i32 s31, s9, s22
	s_add_i32 s25, s34, s12
	s_mul_hi_u32 s12, s31, s13
	s_mul_i32 s24, s31, s30
	s_mul_hi_i32 s22, s9, s22
	s_add_i32 s12, s12, s24
	s_mul_i32 s22, s22, s13
	s_and_b32 s24, s9, 7
	s_ashr_i32 s34, s9, 31
	s_add_i32 s22, s12, s22
	s_cmp_eq_u32 s24, 0
	s_mul_i32 s24, s5, s20
	s_cselect_b32 s30, -1, 0
	s_ashr_i32 s12, s9, 3
	s_mul_i32 s31, s31, s13
	s_cmp_gt_i32 s12, 0
	s_mul_i32 s1, s9, s8
	s_cselect_b32 s5, -1, 0
	s_lshl_b64 s[24:25], s[24:25], 1
	v_mov_b32_e32 v6, 0
	s_add_u32 s13, s14, s24
	s_addc_u32 s14, s15, s25
	s_add_u32 s15, s18, s31
	s_addc_u32 s18, s19, s22
	s_cmp_gt_i32 s9, 0
	s_cselect_b32 s19, -1, 0
	s_abs_i32 s20, s21
	s_and_b32 s22, s0, 0xffff
	v_cvt_f32_u32_e32 v1, s20
	s_sub_i32 s0, 0, s20
	s_ashr_i32 s24, s21, 31
	s_add_u32 s25, s26, -1
	s_delay_alu instid0(VALU_DEP_1) | instskip(SKIP_4) | instid1(VALU_DEP_1)
	v_rcp_iflag_f32_e32 v1, v1
	s_mul_hi_u32 s31, s33, s25
	s_mul_i32 s29, s29, s25
	s_waitcnt_depctr 0xfff
	v_mul_f32_e32 v1, 0x4f7ffffe, v1
	v_cvt_u32_f32_e32 v1, v1
	s_delay_alu instid0(VALU_DEP_1) | instskip(SKIP_1) | instid1(SALU_CYCLE_1)
	v_mul_lo_u32 v2, s0, v1
	s_addc_u32 s0, s36, -1
	s_mul_i32 s0, s33, s0
	s_mul_i32 s33, s33, s25
	s_add_i32 s0, s31, s0
	s_delay_alu instid0(SALU_CYCLE_1) | instskip(NEXT) | instid1(VALU_DEP_1)
	s_add_i32 s0, s0, s29
	v_mul_hi_u32 v2, v1, v2
	s_add_u32 s2, s2, s33
	s_addc_u32 s0, s3, s0
	s_mul_i32 s3, s2, s34
	s_mul_hi_u32 s25, s2, s9
	s_mul_i32 s0, s0, s9
	s_add_i32 s3, s25, s3
	s_mul_i32 s2, s2, s9
	v_add_nc_u32_e32 v26, v1, v2
	s_add_i32 s3, s3, s0
	s_add_u32 s2, s16, s2
	s_addc_u32 s3, s17, s3
	s_xor_b32 s16, s30, -1
	s_branch .LBB1_7
.LBB1_6:                                ;   in Loop: Header=BB1_7 Depth=1
	v_add_nc_u32_e32 v0, s22, v0
	s_delay_alu instid0(VALU_DEP_1) | instskip(SKIP_1) | instid1(SALU_CYCLE_1)
	v_cmp_le_i32_e32 vcc_lo, s26, v0
	s_or_b32 s27, vcc_lo, s27
	s_and_not1_b32 exec_lo, exec_lo, s27
	s_cbranch_execz .LBB1_253
.LBB1_7:                                ; =>This Loop Header: Depth=1
                                        ;     Child Loop BB1_14 Depth 2
                                        ;     Child Loop BB1_29 Depth 2
	;; [unrolled: 1-line block ×5, first 2 shown]
	v_sub_nc_u32_e32 v1, 0, v0
	s_delay_alu instid0(VALU_DEP_1) | instskip(NEXT) | instid1(VALU_DEP_1)
	v_max_i32_e32 v1, v0, v1
	v_mul_hi_u32 v2, v1, v26
	s_delay_alu instid0(VALU_DEP_1) | instskip(NEXT) | instid1(VALU_DEP_1)
	v_mul_lo_u32 v3, v2, s20
	v_sub_nc_u32_e32 v1, v1, v3
	v_add_nc_u32_e32 v3, 1, v2
	s_delay_alu instid0(VALU_DEP_2) | instskip(SKIP_1) | instid1(VALU_DEP_2)
	v_subrev_nc_u32_e32 v4, s20, v1
	v_cmp_le_u32_e32 vcc_lo, s20, v1
	v_dual_cndmask_b32 v2, v2, v3 :: v_dual_cndmask_b32 v1, v1, v4
	v_ashrrev_i32_e32 v3, 31, v0
	s_delay_alu instid0(VALU_DEP_2) | instskip(NEXT) | instid1(VALU_DEP_3)
	v_add_nc_u32_e32 v4, 1, v2
	v_cmp_le_u32_e32 vcc_lo, s20, v1
	s_delay_alu instid0(VALU_DEP_3) | instskip(NEXT) | instid1(VALU_DEP_3)
	v_xor_b32_e32 v3, s24, v3
	v_cndmask_b32_e32 v1, v2, v4, vcc_lo
	s_delay_alu instid0(VALU_DEP_1) | instskip(NEXT) | instid1(VALU_DEP_1)
	v_xor_b32_e32 v1, v1, v3
	v_sub_nc_u32_e32 v1, v1, v3
	s_delay_alu instid0(VALU_DEP_1) | instskip(SKIP_1) | instid1(VALU_DEP_2)
	v_mul_lo_u32 v3, v1, s21
	v_mul_lo_u32 v1, v1, s7
	v_sub_nc_u32_e32 v4, v0, v3
	s_delay_alu instid0(VALU_DEP_2) | instskip(SKIP_1) | instid1(VALU_DEP_3)
	v_ashrrev_i32_e32 v2, 31, v1
	v_mul_lo_u32 v27, v3, s1
	v_mul_lo_u32 v11, v4, s9
	s_delay_alu instid0(VALU_DEP_3) | instskip(SKIP_1) | instid1(VALU_DEP_4)
	v_lshlrev_b64 v[9:10], 1, v[1:2]
	v_mul_lo_u32 v29, s1, v4
	v_ashrrev_i32_e32 v28, 31, v27
	s_delay_alu instid0(VALU_DEP_3) | instskip(SKIP_3) | instid1(VALU_DEP_3)
	v_add_co_u32 v1, vcc_lo, s4, v9
	v_ashrrev_i32_e32 v12, 31, v11
	v_add_co_ci_u32_e32 v2, vcc_lo, s6, v10, vcc_lo
	v_ashrrev_i32_e32 v30, 31, v29
	v_lshlrev_b64 v[7:8], 1, v[11:12]
	s_delay_alu instid0(VALU_DEP_1) | instskip(NEXT) | instid1(VALU_DEP_2)
	v_add_co_u32 v12, vcc_lo, v1, v7
	v_add_co_ci_u32_e32 v13, vcc_lo, v2, v8, vcc_lo
	s_delay_alu instid0(VALU_DEP_2) | instskip(NEXT) | instid1(VALU_DEP_1)
	v_and_b32_e32 v5, 15, v12
	v_cmp_ne_u64_e32 vcc_lo, 0, v[5:6]
	s_or_b32 s0, s16, vcc_lo
	s_delay_alu instid0(SALU_CYCLE_1) | instskip(NEXT) | instid1(SALU_CYCLE_1)
	s_and_saveexec_b32 s17, s0
	s_xor_b32 s17, exec_lo, s17
	s_cbranch_execz .LBB1_138
; %bb.8:                                ;   in Loop: Header=BB1_7 Depth=1
	v_sub_nc_u32_e32 v1, 0, v12
	s_mov_b32 s25, exec_lo
	s_delay_alu instid0(VALU_DEP_1) | instskip(NEXT) | instid1(VALU_DEP_1)
	v_bfe_u32 v1, v1, 1, 3
	v_min_i32_e32 v14, s9, v1
	s_delay_alu instid0(VALU_DEP_1)
	v_cmpx_lt_i32_e32 0, v14
	s_cbranch_execz .LBB1_23
; %bb.9:                                ;   in Loop: Header=BB1_7 Depth=1
	v_add_co_u32 v1, vcc_lo, v27, v29
	v_add_co_ci_u32_e32 v2, vcc_lo, v28, v30, vcc_lo
	v_dual_mov_b32 v3, v12 :: v_dual_mov_b32 v4, v13
	s_delay_alu instid0(VALU_DEP_3) | instskip(NEXT) | instid1(VALU_DEP_3)
	v_add_co_u32 v1, vcc_lo, s2, v1
	v_add_co_ci_u32_e32 v2, vcc_lo, s3, v2, vcc_lo
	v_mov_b32_e32 v19, v14
	s_mov_b32 s29, 0
	s_branch .LBB1_14
.LBB1_10:                               ;   in Loop: Header=BB1_14 Depth=2
	s_or_b32 exec_lo, exec_lo, s0
	s_delay_alu instid0(VALU_DEP_1) | instskip(NEXT) | instid1(VALU_DEP_2)
	v_lshrrev_b64 v[15:16], 20, v[15:16]
	v_cmp_gt_i32_e32 vcc_lo, 16, v5
	v_and_b32_e32 v17, 0x80, v20
	v_min_i32_e32 v18, 15, v5
	v_cmp_eq_u32_e64 s0, 0, v5
	v_dual_cndmask_b32 v16, 0, v16 :: v_dual_cndmask_b32 v15, 7, v15
	s_delay_alu instid0(VALU_DEP_3) | instskip(NEXT) | instid1(VALU_DEP_2)
	v_lshl_or_b32 v17, v18, 3, v17
	v_cmp_eq_u64_e32 vcc_lo, 0, v[15:16]
	s_delay_alu instid0(VALU_DEP_2)
	v_and_or_b32 v5, v15, 7, v17
	s_and_b32 s0, s0, vcc_lo
	s_delay_alu instid0(VALU_DEP_1) | instid1(SALU_CYCLE_1)
	v_cndmask_b32_e64 v15, v5, 0, s0
.LBB1_11:                               ;   in Loop: Header=BB1_14 Depth=2
	s_or_b32 exec_lo, exec_lo, s33
.LBB1_12:                               ;   in Loop: Header=BB1_14 Depth=2
	s_and_not1_saveexec_b32 s0, s31
	s_delay_alu instid0(SALU_CYCLE_1)
	s_or_b32 exec_lo, exec_lo, s0
.LBB1_13:                               ;   in Loop: Header=BB1_14 Depth=2
	s_and_not1_saveexec_b32 s0, s30
	s_delay_alu instid0(SALU_CYCLE_1)
	s_or_b32 exec_lo, exec_lo, s0
	v_add_nc_u32_e32 v19, -1, v19
	v_add_co_u32 v3, vcc_lo, v3, 2
	v_add_co_ci_u32_e32 v4, vcc_lo, 0, v4, vcc_lo
	global_store_b8 v[1:2], v15, off
	v_cmp_eq_u32_e32 vcc_lo, 0, v19
	v_add_co_u32 v1, s0, v1, 1
	s_delay_alu instid0(VALU_DEP_1) | instskip(SKIP_1) | instid1(SALU_CYCLE_1)
	v_add_co_ci_u32_e64 v2, s0, 0, v2, s0
	s_or_b32 s29, vcc_lo, s29
	s_and_not1_b32 exec_lo, exec_lo, s29
	s_cbranch_execz .LBB1_23
.LBB1_14:                               ;   Parent Loop BB1_7 Depth=1
                                        ; =>  This Inner Loop Header: Depth=2
	global_load_u16 v5, v[3:4], off
	s_mov_b32 s0, exec_lo
	s_waitcnt vmcnt(0)
	v_lshlrev_b32_e32 v5, 16, v5
	s_delay_alu instid0(VALU_DEP_1) | instskip(NEXT) | instid1(VALU_DEP_1)
	v_div_scale_f32 v15, null, s10, s10, v5
	v_rcp_f32_e32 v16, v15
	s_waitcnt_depctr 0xfff
	v_fma_f32 v17, -v15, v16, 1.0
	s_delay_alu instid0(VALU_DEP_1) | instskip(SKIP_1) | instid1(VALU_DEP_1)
	v_fmac_f32_e32 v16, v17, v16
	v_div_scale_f32 v17, vcc_lo, v5, s10, v5
	v_mul_f32_e32 v18, v17, v16
	s_delay_alu instid0(VALU_DEP_1) | instskip(NEXT) | instid1(VALU_DEP_1)
	v_fma_f32 v20, -v15, v18, v17
	v_fmac_f32_e32 v18, v20, v16
	s_delay_alu instid0(VALU_DEP_1) | instskip(NEXT) | instid1(VALU_DEP_1)
	v_fma_f32 v15, -v15, v18, v17
	v_div_fmas_f32 v15, v15, v16, v18
	s_delay_alu instid0(VALU_DEP_1) | instskip(NEXT) | instid1(VALU_DEP_1)
	v_div_fixup_f32 v16, v15, s10, v5
	v_lshrrev_b32_e32 v20, 24, v16
	v_and_b32_e32 v5, 0x7f800000, v16
	s_delay_alu instid0(VALU_DEP_2) | instskip(NEXT) | instid1(VALU_DEP_2)
	v_or_b32_e32 v15, 0x7f, v20
	v_cmpx_ne_u64_e32 0x7f800000, v[5:6]
	s_xor_b32 s30, exec_lo, s0
	s_cbranch_execz .LBB1_13
; %bb.15:                               ;   in Loop: Header=BB1_14 Depth=2
	v_and_b32_e32 v5, 0x7fffffff, v16
	s_mov_b32 s0, exec_lo
	s_delay_alu instid0(VALU_DEP_1)
	v_cmpx_gt_u64_e32 0x43700001, v[5:6]
	s_xor_b32 s31, exec_lo, s0
	s_cbranch_execz .LBB1_12
; %bb.16:                               ;   in Loop: Header=BB1_14 Depth=2
	v_mov_b32_e32 v15, 0
	s_mov_b32 s33, exec_lo
	v_cmpx_ne_u32_e32 0, v16
	s_cbranch_execz .LBB1_11
; %bb.17:                               ;   in Loop: Header=BB1_14 Depth=2
	v_bfe_u32 v21, v16, 23, 8
	v_mov_b32_e32 v18, v6
	s_delay_alu instid0(VALU_DEP_2) | instskip(SKIP_1) | instid1(VALU_DEP_2)
	v_sub_nc_u32_e32 v5, 0x78, v21
	v_cmp_gt_u32_e32 vcc_lo, 0x79, v21
	v_cndmask_b32_e32 v5, 0, v5, vcc_lo
	v_cmp_eq_u32_e32 vcc_lo, 0, v21
	s_delay_alu instid0(VALU_DEP_2) | instskip(SKIP_1) | instid1(VALU_DEP_2)
	v_cndmask_b32_e64 v22, v5, 0x77, vcc_lo
	v_and_b32_e32 v5, 0x7fffff, v16
	v_add_nc_u32_e32 v15, 20, v22
	s_delay_alu instid0(VALU_DEP_2) | instskip(NEXT) | instid1(VALU_DEP_2)
	v_or_b32_e32 v17, 0x800000, v5
	v_lshlrev_b64 v[15:16], v15, -1
	s_delay_alu instid0(VALU_DEP_2) | instskip(NEXT) | instid1(VALU_DEP_2)
	v_dual_cndmask_b32 v5, v17, v5 :: v_dual_add_nc_u32 v16, 19, v22
	v_not_b32_e32 v15, v15
	s_delay_alu instid0(VALU_DEP_2) | instskip(NEXT) | instid1(VALU_DEP_2)
	v_lshlrev_b64 v[23:24], v16, 1
	v_and_b32_e32 v17, v5, v15
	v_lshrrev_b64 v[15:16], v22, v[5:6]
	s_delay_alu instid0(VALU_DEP_2) | instskip(NEXT) | instid1(VALU_DEP_2)
	v_cmp_eq_u64_e64 s0, v[17:18], v[23:24]
	v_dual_mov_b32 v18, v16 :: v_dual_mov_b32 v17, v15
	s_delay_alu instid0(VALU_DEP_2)
	s_and_saveexec_b32 s34, s0
; %bb.18:                               ;   in Loop: Header=BB1_14 Depth=2
	v_bfe_u32 v5, v15, 20, 1
	s_delay_alu instid0(VALU_DEP_1) | instskip(NEXT) | instid1(VALU_DEP_1)
	v_add_co_u32 v5, s0, v15, v5
	v_add_co_u32 v17, s0, v5, -1
; %bb.19:                               ;   in Loop: Header=BB1_14 Depth=2
	s_or_b32 exec_lo, exec_lo, s34
	v_add_nc_u32_e32 v5, 0xffffff81, v21
	v_lshrrev_b32_e32 v18, 23, v15
	s_mov_b32 s0, exec_lo
	s_delay_alu instid0(VALU_DEP_2) | instskip(NEXT) | instid1(VALU_DEP_1)
	v_cndmask_b32_e64 v5, v5, 0xffffff82, vcc_lo
	v_add3_u32 v18, v22, v5, v18
	v_and_b32_e32 v5, 0xfffff, v17
	s_delay_alu instid0(VALU_DEP_2) | instskip(NEXT) | instid1(VALU_DEP_2)
	v_add_nc_u32_e32 v17, 7, v18
	v_add_co_u32 v15, vcc_lo, v5, v15
	v_add_co_ci_u32_e32 v16, vcc_lo, 0, v16, vcc_lo
                                        ; implicit-def: $vgpr5
	s_delay_alu instid0(VALU_DEP_3)
	v_cmpx_ne_u32_e32 0, v17
	s_xor_b32 s0, exec_lo, s0
; %bb.20:                               ;   in Loop: Header=BB1_14 Depth=2
	s_delay_alu instid0(VALU_DEP_2) | instskip(SKIP_1) | instid1(VALU_DEP_1)
	v_cmp_lt_u64_e32 vcc_lo, 0xffffff, v[15:16]
	v_add_nc_u32_e32 v5, 8, v18
	v_cndmask_b32_e32 v5, v17, v5, vcc_lo
	v_cndmask_b32_e64 v17, 0, 1, vcc_lo
	s_delay_alu instid0(VALU_DEP_1)
	v_lshrrev_b64 v[15:16], v17, v[15:16]
; %bb.21:                               ;   in Loop: Header=BB1_14 Depth=2
	s_and_not1_saveexec_b32 s0, s0
	s_cbranch_execz .LBB1_10
; %bb.22:                               ;   in Loop: Header=BB1_14 Depth=2
	s_delay_alu instid0(VALU_DEP_1)
	v_bfe_u32 v5, v15, 23, 1
	s_branch .LBB1_10
.LBB1_23:                               ;   in Loop: Header=BB1_7 Depth=1
	s_or_b32 exec_lo, exec_lo, s25
	v_sub_nc_u32_e32 v31, s9, v14
	v_ashrrev_i32_e32 v15, 31, v14
	s_mov_b32 s25, exec_lo
	s_delay_alu instid0(VALU_DEP_2) | instskip(NEXT) | instid1(VALU_DEP_1)
	v_ashrrev_i32_e32 v1, 31, v31
	v_lshrrev_b32_e32 v1, 29, v1
	s_delay_alu instid0(VALU_DEP_1) | instskip(NEXT) | instid1(VALU_DEP_1)
	v_add_nc_u32_e32 v1, v31, v1
	v_ashrrev_i32_e32 v32, 3, v1
	v_cmpx_lt_i32_e32 7, v31
	s_cbranch_execz .LBB1_122
; %bb.24:                               ;   in Loop: Header=BB1_7 Depth=1
	v_add_co_u32 v3, vcc_lo, v14, v27
	v_add_co_ci_u32_e32 v4, vcc_lo, v15, v28, vcc_lo
	v_lshlrev_b64 v[1:2], 1, v[14:15]
	s_delay_alu instid0(VALU_DEP_3) | instskip(NEXT) | instid1(VALU_DEP_3)
	v_add_co_u32 v3, vcc_lo, v3, v29
	v_add_co_ci_u32_e32 v4, vcc_lo, v4, v30, vcc_lo
	v_mov_b32_e32 v33, v32
	s_delay_alu instid0(VALU_DEP_4)
	v_add_co_u32 v12, vcc_lo, v12, v1
	v_add_co_ci_u32_e32 v13, vcc_lo, v13, v2, vcc_lo
	v_add_co_u32 v16, vcc_lo, s2, v3
	v_add_co_ci_u32_e32 v17, vcc_lo, s3, v4, vcc_lo
	s_mov_b32 s29, 0
	s_branch .LBB1_29
.LBB1_25:                               ;   in Loop: Header=BB1_29 Depth=2
	s_or_b32 exec_lo, exec_lo, s0
	s_delay_alu instid0(VALU_DEP_1) | instskip(NEXT) | instid1(VALU_DEP_2)
	v_lshrrev_b64 v[3:4], 20, v[3:4]
	v_cmp_gt_i32_e32 vcc_lo, 16, v5
	v_and_b32_e32 v23, 0x80, v25
	v_min_i32_e32 v24, 15, v5
	v_cmp_eq_u32_e64 s0, 0, v5
	v_dual_cndmask_b32 v4, 0, v4 :: v_dual_cndmask_b32 v3, 7, v3
	s_delay_alu instid0(VALU_DEP_3) | instskip(NEXT) | instid1(VALU_DEP_2)
	v_lshl_or_b32 v23, v24, 3, v23
	v_cmp_eq_u64_e32 vcc_lo, 0, v[3:4]
	s_delay_alu instid0(VALU_DEP_2)
	v_and_or_b32 v3, v3, 7, v23
	s_and_b32 s0, s0, vcc_lo
	s_delay_alu instid0(VALU_DEP_1) | instid1(SALU_CYCLE_1)
	v_cndmask_b32_e64 v3, v3, 0, s0
.LBB1_26:                               ;   in Loop: Header=BB1_29 Depth=2
	s_or_b32 exec_lo, exec_lo, s33
.LBB1_27:                               ;   in Loop: Header=BB1_29 Depth=2
	s_and_not1_saveexec_b32 s0, s31
	s_delay_alu instid0(SALU_CYCLE_1)
	s_or_b32 exec_lo, exec_lo, s0
.LBB1_28:                               ;   in Loop: Header=BB1_29 Depth=2
	s_and_not1_saveexec_b32 s0, s30
	s_delay_alu instid0(SALU_CYCLE_1)
	s_or_b32 exec_lo, exec_lo, s0
	v_lshlrev_b32_e32 v4, 16, v22
	v_lshlrev_b32_e32 v5, 16, v20
	;; [unrolled: 1-line block ×5, first 2 shown]
	v_and_b32_e32 v4, 0xff0000, v4
	v_perm_b32 v1, v1, v5, 0x4020c0c
	v_and_b32_e32 v5, 0xff, v21
	v_and_b32_e32 v18, 0xff, v18
	;; [unrolled: 1-line block ×3, first 2 shown]
	v_or_b32_e32 v3, v3, v4
	v_and_or_b32 v1, 0xff00, v19, v1
	v_add_nc_u32_e32 v33, -1, v33
	s_delay_alu instid0(VALU_DEP_3) | instskip(NEXT) | instid1(VALU_DEP_3)
	v_or3_b32 v2, v3, v2, v5
	v_or_b32_e32 v1, v1, v18
	s_delay_alu instid0(VALU_DEP_3) | instskip(SKIP_2) | instid1(VALU_DEP_1)
	v_cmp_eq_u32_e32 vcc_lo, 0, v33
	global_store_b64 v[16:17], v[1:2], off
	v_add_co_u32 v16, s0, v16, 8
	v_add_co_ci_u32_e64 v17, s0, 0, v17, s0
	v_add_co_u32 v12, s0, v12, 16
	s_delay_alu instid0(VALU_DEP_1) | instskip(SKIP_1) | instid1(SALU_CYCLE_1)
	v_add_co_ci_u32_e64 v13, s0, 0, v13, s0
	s_or_b32 s29, vcc_lo, s29
	s_and_not1_b32 exec_lo, exec_lo, s29
	s_cbranch_execz .LBB1_122
.LBB1_29:                               ;   Parent Loop BB1_7 Depth=1
                                        ; =>  This Inner Loop Header: Depth=2
	global_load_b128 v[1:4], v[12:13], off
	s_mov_b32 s0, exec_lo
	s_waitcnt vmcnt(0)
	v_lshlrev_b32_e32 v5, 16, v1
	s_delay_alu instid0(VALU_DEP_1) | instskip(NEXT) | instid1(VALU_DEP_1)
	v_div_scale_f32 v18, null, s10, s10, v5
	v_rcp_f32_e32 v19, v18
	s_waitcnt_depctr 0xfff
	v_fma_f32 v20, -v18, v19, 1.0
	s_delay_alu instid0(VALU_DEP_1) | instskip(SKIP_1) | instid1(VALU_DEP_1)
	v_fmac_f32_e32 v19, v20, v19
	v_div_scale_f32 v20, vcc_lo, v5, s10, v5
	v_mul_f32_e32 v21, v20, v19
	s_delay_alu instid0(VALU_DEP_1) | instskip(NEXT) | instid1(VALU_DEP_1)
	v_fma_f32 v22, -v18, v21, v20
	v_fmac_f32_e32 v21, v22, v19
	s_delay_alu instid0(VALU_DEP_1) | instskip(NEXT) | instid1(VALU_DEP_1)
	v_fma_f32 v18, -v18, v21, v20
	v_div_fmas_f32 v18, v18, v19, v21
	s_delay_alu instid0(VALU_DEP_1) | instskip(NEXT) | instid1(VALU_DEP_1)
	v_div_fixup_f32 v20, v18, s10, v5
	v_lshrrev_b32_e32 v22, 24, v20
	v_and_b32_e32 v5, 0x7f800000, v20
	s_delay_alu instid0(VALU_DEP_2) | instskip(NEXT) | instid1(VALU_DEP_2)
	v_or_b32_e32 v18, 0x7f, v22
	v_cmpx_ne_u64_e32 0x7f800000, v[5:6]
	s_xor_b32 s30, exec_lo, s0
	s_cbranch_execz .LBB1_41
; %bb.30:                               ;   in Loop: Header=BB1_29 Depth=2
	v_and_b32_e32 v5, 0x7fffffff, v20
	s_mov_b32 s0, exec_lo
	s_delay_alu instid0(VALU_DEP_1)
	v_cmpx_gt_u64_e32 0x43700001, v[5:6]
	s_xor_b32 s31, exec_lo, s0
	s_cbranch_execz .LBB1_40
; %bb.31:                               ;   in Loop: Header=BB1_29 Depth=2
	s_mov_b32 s33, exec_lo
	v_mov_b32_e32 v18, 0
	v_mov_b32_e32 v19, 0
	v_cmpx_ne_u32_e32 0, v20
	s_cbranch_execz .LBB1_39
; %bb.32:                               ;   in Loop: Header=BB1_29 Depth=2
	v_bfe_u32 v23, v20, 23, 8
	s_delay_alu instid0(VALU_DEP_1) | instskip(SKIP_1) | instid1(VALU_DEP_2)
	v_sub_nc_u32_e32 v5, 0x78, v23
	v_cmp_gt_u32_e32 vcc_lo, 0x79, v23
	v_cndmask_b32_e32 v5, 0, v5, vcc_lo
	v_cmp_eq_u32_e32 vcc_lo, 0, v23
	s_delay_alu instid0(VALU_DEP_2) | instskip(SKIP_1) | instid1(VALU_DEP_2)
	v_cndmask_b32_e64 v24, v5, 0x77, vcc_lo
	v_and_b32_e32 v5, 0x7fffff, v20
	v_add_nc_u32_e32 v18, 20, v24
	s_delay_alu instid0(VALU_DEP_2) | instskip(NEXT) | instid1(VALU_DEP_2)
	v_or_b32_e32 v20, 0x800000, v5
	v_lshlrev_b64 v[18:19], v18, -1
	s_delay_alu instid0(VALU_DEP_2) | instskip(SKIP_1) | instid1(VALU_DEP_3)
	v_cndmask_b32_e32 v5, v20, v5, vcc_lo
	v_add_nc_u32_e32 v19, 19, v24
	v_not_b32_e32 v18, v18
	v_mov_b32_e32 v21, v6
	s_delay_alu instid0(VALU_DEP_3) | instskip(NEXT) | instid1(VALU_DEP_3)
	v_lshlrev_b64 v[34:35], v19, 1
	v_and_b32_e32 v20, v5, v18
	v_lshrrev_b64 v[18:19], v24, v[5:6]
	s_delay_alu instid0(VALU_DEP_2) | instskip(NEXT) | instid1(VALU_DEP_2)
	v_cmp_eq_u64_e64 s0, v[20:21], v[34:35]
	v_dual_mov_b32 v21, v19 :: v_dual_mov_b32 v20, v18
	s_delay_alu instid0(VALU_DEP_2)
	s_and_saveexec_b32 s34, s0
; %bb.33:                               ;   in Loop: Header=BB1_29 Depth=2
	v_bfe_u32 v5, v18, 20, 1
	s_delay_alu instid0(VALU_DEP_1) | instskip(NEXT) | instid1(VALU_DEP_1)
	v_add_co_u32 v5, s0, v18, v5
	v_add_co_u32 v20, s0, v5, -1
; %bb.34:                               ;   in Loop: Header=BB1_29 Depth=2
	s_or_b32 exec_lo, exec_lo, s34
	v_add_nc_u32_e32 v5, 0xffffff81, v23
	v_lshrrev_b32_e32 v21, 23, v18
	s_mov_b32 s0, exec_lo
	s_delay_alu instid0(VALU_DEP_2) | instskip(NEXT) | instid1(VALU_DEP_1)
	v_cndmask_b32_e64 v5, v5, 0xffffff82, vcc_lo
	v_add3_u32 v21, v24, v5, v21
	v_and_b32_e32 v5, 0xfffff, v20
	s_delay_alu instid0(VALU_DEP_2) | instskip(NEXT) | instid1(VALU_DEP_2)
	v_add_nc_u32_e32 v20, 7, v21
	v_add_co_u32 v18, vcc_lo, v5, v18
	v_add_co_ci_u32_e32 v19, vcc_lo, 0, v19, vcc_lo
                                        ; implicit-def: $vgpr5
	s_delay_alu instid0(VALU_DEP_3)
	v_cmpx_ne_u32_e32 0, v20
	s_xor_b32 s0, exec_lo, s0
; %bb.35:                               ;   in Loop: Header=BB1_29 Depth=2
	s_delay_alu instid0(VALU_DEP_2) | instskip(SKIP_1) | instid1(VALU_DEP_1)
	v_cmp_lt_u64_e32 vcc_lo, 0xffffff, v[18:19]
	v_add_nc_u32_e32 v5, 8, v21
	v_cndmask_b32_e32 v5, v20, v5, vcc_lo
	v_cndmask_b32_e64 v20, 0, 1, vcc_lo
	s_delay_alu instid0(VALU_DEP_1)
	v_lshrrev_b64 v[18:19], v20, v[18:19]
; %bb.36:                               ;   in Loop: Header=BB1_29 Depth=2
	s_and_not1_saveexec_b32 s0, s0
; %bb.37:                               ;   in Loop: Header=BB1_29 Depth=2
	s_delay_alu instid0(VALU_DEP_1)
	v_bfe_u32 v5, v18, 23, 1
; %bb.38:                               ;   in Loop: Header=BB1_29 Depth=2
	s_or_b32 exec_lo, exec_lo, s0
	s_delay_alu instid0(VALU_DEP_2) | instskip(NEXT) | instid1(VALU_DEP_2)
	v_lshrrev_b64 v[18:19], 20, v[18:19]
	v_cmp_gt_i32_e32 vcc_lo, 16, v5
	v_and_b32_e32 v20, 0x80, v22
	v_min_i32_e32 v21, 15, v5
	v_cmp_eq_u32_e64 s0, 0, v5
	v_dual_cndmask_b32 v19, 0, v19 :: v_dual_cndmask_b32 v18, 7, v18
	s_delay_alu instid0(VALU_DEP_3) | instskip(NEXT) | instid1(VALU_DEP_2)
	v_lshl_or_b32 v20, v21, 3, v20
	v_cmp_eq_u64_e32 vcc_lo, 0, v[18:19]
	s_delay_alu instid0(VALU_DEP_2)
	v_and_or_b32 v5, v18, 7, v20
	s_and_b32 s0, s0, vcc_lo
	s_delay_alu instid0(VALU_DEP_1) | instid1(SALU_CYCLE_1)
	v_cndmask_b32_e64 v18, v5, 0, s0
.LBB1_39:                               ;   in Loop: Header=BB1_29 Depth=2
	s_or_b32 exec_lo, exec_lo, s33
.LBB1_40:                               ;   in Loop: Header=BB1_29 Depth=2
	s_and_not1_saveexec_b32 s0, s31
	s_delay_alu instid0(SALU_CYCLE_1)
	s_or_b32 exec_lo, exec_lo, s0
.LBB1_41:                               ;   in Loop: Header=BB1_29 Depth=2
	s_and_not1_saveexec_b32 s0, s30
	s_delay_alu instid0(SALU_CYCLE_1) | instskip(SKIP_2) | instid1(VALU_DEP_1)
	s_or_b32 exec_lo, exec_lo, s0
	v_and_b32_e32 v1, 0xffff0000, v1
	s_mov_b32 s0, exec_lo
	v_div_scale_f32 v5, null, s10, s10, v1
	s_delay_alu instid0(VALU_DEP_1) | instskip(SKIP_2) | instid1(VALU_DEP_1)
	v_rcp_f32_e32 v19, v5
	s_waitcnt_depctr 0xfff
	v_fma_f32 v20, -v5, v19, 1.0
	v_fmac_f32_e32 v19, v20, v19
	v_div_scale_f32 v20, vcc_lo, v1, s10, v1
	s_delay_alu instid0(VALU_DEP_1) | instskip(NEXT) | instid1(VALU_DEP_1)
	v_mul_f32_e32 v21, v20, v19
	v_fma_f32 v22, -v5, v21, v20
	s_delay_alu instid0(VALU_DEP_1) | instskip(NEXT) | instid1(VALU_DEP_1)
	v_fmac_f32_e32 v21, v22, v19
	v_fma_f32 v5, -v5, v21, v20
	s_delay_alu instid0(VALU_DEP_1) | instskip(NEXT) | instid1(VALU_DEP_1)
	v_div_fmas_f32 v5, v5, v19, v21
	v_div_fixup_f32 v21, v5, s10, v1
	s_delay_alu instid0(VALU_DEP_1) | instskip(SKIP_1) | instid1(VALU_DEP_2)
	v_lshrrev_b32_e32 v1, 24, v21
	v_and_b32_e32 v5, 0x7f800000, v21
	v_or_b32_e32 v19, 0x7f, v1
	s_delay_alu instid0(VALU_DEP_2)
	v_cmpx_ne_u64_e32 0x7f800000, v[5:6]
	s_xor_b32 s30, exec_lo, s0
	s_cbranch_execz .LBB1_53
; %bb.42:                               ;   in Loop: Header=BB1_29 Depth=2
	v_and_b32_e32 v5, 0x7fffffff, v21
	s_mov_b32 s0, exec_lo
	s_delay_alu instid0(VALU_DEP_1)
	v_cmpx_gt_u64_e32 0x43700001, v[5:6]
	s_xor_b32 s31, exec_lo, s0
	s_cbranch_execz .LBB1_52
; %bb.43:                               ;   in Loop: Header=BB1_29 Depth=2
	s_mov_b32 s33, exec_lo
	v_mov_b32_e32 v19, 0
	v_mov_b32_e32 v20, 0
	v_cmpx_ne_u32_e32 0, v21
	s_cbranch_execz .LBB1_51
; %bb.44:                               ;   in Loop: Header=BB1_29 Depth=2
	v_bfe_u32 v23, v21, 23, 8
	v_mov_b32_e32 v22, v6
	s_delay_alu instid0(VALU_DEP_2) | instskip(SKIP_1) | instid1(VALU_DEP_2)
	v_sub_nc_u32_e32 v5, 0x78, v23
	v_cmp_gt_u32_e32 vcc_lo, 0x79, v23
	v_cndmask_b32_e32 v5, 0, v5, vcc_lo
	v_cmp_eq_u32_e32 vcc_lo, 0, v23
	s_delay_alu instid0(VALU_DEP_2) | instskip(SKIP_1) | instid1(VALU_DEP_2)
	v_cndmask_b32_e64 v24, v5, 0x77, vcc_lo
	v_and_b32_e32 v5, 0x7fffff, v21
	v_add_nc_u32_e32 v19, 20, v24
	s_delay_alu instid0(VALU_DEP_2) | instskip(NEXT) | instid1(VALU_DEP_2)
	v_or_b32_e32 v21, 0x800000, v5
	v_lshlrev_b64 v[19:20], v19, -1
	s_delay_alu instid0(VALU_DEP_2) | instskip(NEXT) | instid1(VALU_DEP_2)
	v_dual_cndmask_b32 v5, v21, v5 :: v_dual_add_nc_u32 v20, 19, v24
	v_not_b32_e32 v19, v19
	s_delay_alu instid0(VALU_DEP_2) | instskip(NEXT) | instid1(VALU_DEP_2)
	v_lshlrev_b64 v[34:35], v20, 1
	v_and_b32_e32 v21, v5, v19
	v_lshrrev_b64 v[19:20], v24, v[5:6]
	s_delay_alu instid0(VALU_DEP_2) | instskip(NEXT) | instid1(VALU_DEP_2)
	v_cmp_eq_u64_e64 s0, v[21:22], v[34:35]
	v_dual_mov_b32 v22, v20 :: v_dual_mov_b32 v21, v19
	s_delay_alu instid0(VALU_DEP_2)
	s_and_saveexec_b32 s34, s0
; %bb.45:                               ;   in Loop: Header=BB1_29 Depth=2
	v_bfe_u32 v5, v19, 20, 1
	s_delay_alu instid0(VALU_DEP_1) | instskip(NEXT) | instid1(VALU_DEP_1)
	v_add_co_u32 v5, s0, v19, v5
	v_add_co_u32 v21, s0, v5, -1
; %bb.46:                               ;   in Loop: Header=BB1_29 Depth=2
	s_or_b32 exec_lo, exec_lo, s34
	v_add_nc_u32_e32 v5, 0xffffff81, v23
	v_lshrrev_b32_e32 v22, 23, v19
	s_mov_b32 s0, exec_lo
	s_delay_alu instid0(VALU_DEP_2) | instskip(NEXT) | instid1(VALU_DEP_1)
	v_cndmask_b32_e64 v5, v5, 0xffffff82, vcc_lo
	v_add3_u32 v22, v24, v5, v22
	v_and_b32_e32 v5, 0xfffff, v21
	s_delay_alu instid0(VALU_DEP_2) | instskip(NEXT) | instid1(VALU_DEP_2)
	v_add_nc_u32_e32 v21, 7, v22
	v_add_co_u32 v19, vcc_lo, v5, v19
	v_add_co_ci_u32_e32 v20, vcc_lo, 0, v20, vcc_lo
                                        ; implicit-def: $vgpr5
	s_delay_alu instid0(VALU_DEP_3)
	v_cmpx_ne_u32_e32 0, v21
	s_xor_b32 s0, exec_lo, s0
; %bb.47:                               ;   in Loop: Header=BB1_29 Depth=2
	s_delay_alu instid0(VALU_DEP_2) | instskip(SKIP_1) | instid1(VALU_DEP_1)
	v_cmp_lt_u64_e32 vcc_lo, 0xffffff, v[19:20]
	v_add_nc_u32_e32 v5, 8, v22
	v_cndmask_b32_e32 v5, v21, v5, vcc_lo
	v_cndmask_b32_e64 v21, 0, 1, vcc_lo
	s_delay_alu instid0(VALU_DEP_1)
	v_lshrrev_b64 v[19:20], v21, v[19:20]
; %bb.48:                               ;   in Loop: Header=BB1_29 Depth=2
	s_and_not1_saveexec_b32 s0, s0
; %bb.49:                               ;   in Loop: Header=BB1_29 Depth=2
	s_delay_alu instid0(VALU_DEP_1)
	v_bfe_u32 v5, v19, 23, 1
; %bb.50:                               ;   in Loop: Header=BB1_29 Depth=2
	s_or_b32 exec_lo, exec_lo, s0
	s_delay_alu instid0(VALU_DEP_2) | instskip(NEXT) | instid1(VALU_DEP_2)
	v_lshrrev_b64 v[19:20], 20, v[19:20]
	v_cmp_gt_i32_e32 vcc_lo, 16, v5
	v_and_b32_e32 v1, 0x80, v1
	v_min_i32_e32 v21, 15, v5
	v_cmp_eq_u32_e64 s0, 0, v5
	v_dual_cndmask_b32 v20, 0, v20 :: v_dual_cndmask_b32 v19, 7, v19
	s_delay_alu instid0(VALU_DEP_3) | instskip(NEXT) | instid1(VALU_DEP_2)
	v_lshl_or_b32 v1, v21, 3, v1
	v_cmp_eq_u64_e32 vcc_lo, 0, v[19:20]
	s_delay_alu instid0(VALU_DEP_2)
	v_and_or_b32 v1, v19, 7, v1
	s_and_b32 s0, s0, vcc_lo
	s_delay_alu instid0(VALU_DEP_1) | instid1(SALU_CYCLE_1)
	v_cndmask_b32_e64 v19, v1, 0, s0
.LBB1_51:                               ;   in Loop: Header=BB1_29 Depth=2
	s_or_b32 exec_lo, exec_lo, s33
.LBB1_52:                               ;   in Loop: Header=BB1_29 Depth=2
	s_and_not1_saveexec_b32 s0, s31
	s_delay_alu instid0(SALU_CYCLE_1)
	s_or_b32 exec_lo, exec_lo, s0
.LBB1_53:                               ;   in Loop: Header=BB1_29 Depth=2
	s_and_not1_saveexec_b32 s0, s30
	s_delay_alu instid0(SALU_CYCLE_1) | instskip(SKIP_2) | instid1(VALU_DEP_1)
	s_or_b32 exec_lo, exec_lo, s0
	v_lshlrev_b32_e32 v1, 16, v2
	s_mov_b32 s0, exec_lo
	v_div_scale_f32 v5, null, s10, s10, v1
	s_delay_alu instid0(VALU_DEP_1) | instskip(SKIP_2) | instid1(VALU_DEP_1)
	v_rcp_f32_e32 v20, v5
	s_waitcnt_depctr 0xfff
	v_fma_f32 v21, -v5, v20, 1.0
	v_fmac_f32_e32 v20, v21, v20
	v_div_scale_f32 v21, vcc_lo, v1, s10, v1
	s_delay_alu instid0(VALU_DEP_1) | instskip(NEXT) | instid1(VALU_DEP_1)
	v_mul_f32_e32 v22, v21, v20
	v_fma_f32 v23, -v5, v22, v21
	s_delay_alu instid0(VALU_DEP_1) | instskip(NEXT) | instid1(VALU_DEP_1)
	v_fmac_f32_e32 v22, v23, v20
	v_fma_f32 v5, -v5, v22, v21
	s_delay_alu instid0(VALU_DEP_1) | instskip(NEXT) | instid1(VALU_DEP_1)
	v_div_fmas_f32 v5, v5, v20, v22
	v_div_fixup_f32 v22, v5, s10, v1
	s_delay_alu instid0(VALU_DEP_1) | instskip(SKIP_1) | instid1(VALU_DEP_2)
	v_lshrrev_b32_e32 v1, 24, v22
	v_and_b32_e32 v5, 0x7f800000, v22
	v_or_b32_e32 v20, 0x7f, v1
	s_delay_alu instid0(VALU_DEP_2)
	v_cmpx_ne_u64_e32 0x7f800000, v[5:6]
	s_xor_b32 s30, exec_lo, s0
	s_cbranch_execz .LBB1_65
; %bb.54:                               ;   in Loop: Header=BB1_29 Depth=2
	v_and_b32_e32 v5, 0x7fffffff, v22
	s_mov_b32 s0, exec_lo
	s_delay_alu instid0(VALU_DEP_1)
	v_cmpx_gt_u64_e32 0x43700001, v[5:6]
	s_xor_b32 s31, exec_lo, s0
	s_cbranch_execz .LBB1_64
; %bb.55:                               ;   in Loop: Header=BB1_29 Depth=2
	s_mov_b32 s33, exec_lo
	v_mov_b32_e32 v20, 0
	v_mov_b32_e32 v21, 0
	v_cmpx_ne_u32_e32 0, v22
	s_cbranch_execz .LBB1_63
; %bb.56:                               ;   in Loop: Header=BB1_29 Depth=2
	v_bfe_u32 v24, v22, 23, 8
	v_mov_b32_e32 v23, v6
	s_delay_alu instid0(VALU_DEP_2) | instskip(SKIP_1) | instid1(VALU_DEP_2)
	v_sub_nc_u32_e32 v5, 0x78, v24
	v_cmp_gt_u32_e32 vcc_lo, 0x79, v24
	v_cndmask_b32_e32 v5, 0, v5, vcc_lo
	v_cmp_eq_u32_e32 vcc_lo, 0, v24
	s_delay_alu instid0(VALU_DEP_2) | instskip(SKIP_1) | instid1(VALU_DEP_2)
	v_cndmask_b32_e64 v25, v5, 0x77, vcc_lo
	v_and_b32_e32 v5, 0x7fffff, v22
	v_add_nc_u32_e32 v20, 20, v25
	s_delay_alu instid0(VALU_DEP_2) | instskip(NEXT) | instid1(VALU_DEP_2)
	v_or_b32_e32 v22, 0x800000, v5
	v_lshlrev_b64 v[20:21], v20, -1
	s_delay_alu instid0(VALU_DEP_2) | instskip(SKIP_1) | instid1(VALU_DEP_3)
	v_cndmask_b32_e32 v5, v22, v5, vcc_lo
	v_add_nc_u32_e32 v21, 19, v25
	v_not_b32_e32 v20, v20
	s_delay_alu instid0(VALU_DEP_2) | instskip(NEXT) | instid1(VALU_DEP_2)
	v_lshlrev_b64 v[34:35], v21, 1
	v_and_b32_e32 v22, v5, v20
	v_lshrrev_b64 v[20:21], v25, v[5:6]
	s_delay_alu instid0(VALU_DEP_2) | instskip(NEXT) | instid1(VALU_DEP_2)
	v_cmp_eq_u64_e64 s0, v[22:23], v[34:35]
	v_dual_mov_b32 v23, v21 :: v_dual_mov_b32 v22, v20
	s_delay_alu instid0(VALU_DEP_2)
	s_and_saveexec_b32 s34, s0
; %bb.57:                               ;   in Loop: Header=BB1_29 Depth=2
	v_bfe_u32 v5, v20, 20, 1
	s_delay_alu instid0(VALU_DEP_1) | instskip(NEXT) | instid1(VALU_DEP_1)
	v_add_co_u32 v5, s0, v20, v5
	v_add_co_u32 v22, s0, v5, -1
; %bb.58:                               ;   in Loop: Header=BB1_29 Depth=2
	s_or_b32 exec_lo, exec_lo, s34
	v_add_nc_u32_e32 v5, 0xffffff81, v24
	v_lshrrev_b32_e32 v23, 23, v20
	s_mov_b32 s0, exec_lo
	s_delay_alu instid0(VALU_DEP_2) | instskip(NEXT) | instid1(VALU_DEP_1)
	v_cndmask_b32_e64 v5, v5, 0xffffff82, vcc_lo
	v_add3_u32 v23, v25, v5, v23
	v_and_b32_e32 v5, 0xfffff, v22
	s_delay_alu instid0(VALU_DEP_2) | instskip(NEXT) | instid1(VALU_DEP_2)
	v_add_nc_u32_e32 v22, 7, v23
	v_add_co_u32 v20, vcc_lo, v5, v20
	v_add_co_ci_u32_e32 v21, vcc_lo, 0, v21, vcc_lo
                                        ; implicit-def: $vgpr5
	s_delay_alu instid0(VALU_DEP_3)
	v_cmpx_ne_u32_e32 0, v22
	s_xor_b32 s0, exec_lo, s0
; %bb.59:                               ;   in Loop: Header=BB1_29 Depth=2
	s_delay_alu instid0(VALU_DEP_2) | instskip(SKIP_1) | instid1(VALU_DEP_1)
	v_cmp_lt_u64_e32 vcc_lo, 0xffffff, v[20:21]
	v_add_nc_u32_e32 v5, 8, v23
	v_cndmask_b32_e32 v5, v22, v5, vcc_lo
	v_cndmask_b32_e64 v22, 0, 1, vcc_lo
	s_delay_alu instid0(VALU_DEP_1)
	v_lshrrev_b64 v[20:21], v22, v[20:21]
; %bb.60:                               ;   in Loop: Header=BB1_29 Depth=2
	s_and_not1_saveexec_b32 s0, s0
; %bb.61:                               ;   in Loop: Header=BB1_29 Depth=2
	s_delay_alu instid0(VALU_DEP_1)
	v_bfe_u32 v5, v20, 23, 1
; %bb.62:                               ;   in Loop: Header=BB1_29 Depth=2
	s_or_b32 exec_lo, exec_lo, s0
	s_delay_alu instid0(VALU_DEP_2) | instskip(NEXT) | instid1(VALU_DEP_2)
	v_lshrrev_b64 v[20:21], 20, v[20:21]
	v_cmp_gt_i32_e32 vcc_lo, 16, v5
	v_and_b32_e32 v1, 0x80, v1
	v_min_i32_e32 v22, 15, v5
	v_cmp_eq_u32_e64 s0, 0, v5
	v_dual_cndmask_b32 v20, 7, v20 :: v_dual_cndmask_b32 v21, 0, v21
	s_delay_alu instid0(VALU_DEP_3) | instskip(NEXT) | instid1(VALU_DEP_2)
	v_lshl_or_b32 v1, v22, 3, v1
	v_cmp_eq_u64_e32 vcc_lo, 0, v[20:21]
	s_delay_alu instid0(VALU_DEP_2)
	v_and_or_b32 v1, v20, 7, v1
	s_and_b32 s0, s0, vcc_lo
	s_delay_alu instid0(VALU_DEP_1) | instid1(SALU_CYCLE_1)
	v_cndmask_b32_e64 v20, v1, 0, s0
.LBB1_63:                               ;   in Loop: Header=BB1_29 Depth=2
	s_or_b32 exec_lo, exec_lo, s33
.LBB1_64:                               ;   in Loop: Header=BB1_29 Depth=2
	s_and_not1_saveexec_b32 s0, s31
	s_delay_alu instid0(SALU_CYCLE_1)
	s_or_b32 exec_lo, exec_lo, s0
.LBB1_65:                               ;   in Loop: Header=BB1_29 Depth=2
	s_and_not1_saveexec_b32 s0, s30
	s_delay_alu instid0(SALU_CYCLE_1) | instskip(SKIP_2) | instid1(VALU_DEP_1)
	s_or_b32 exec_lo, exec_lo, s0
	v_and_b32_e32 v1, 0xffff0000, v2
	s_mov_b32 s0, exec_lo
	v_div_scale_f32 v2, null, s10, s10, v1
	s_delay_alu instid0(VALU_DEP_1) | instskip(SKIP_2) | instid1(VALU_DEP_1)
	v_rcp_f32_e32 v5, v2
	s_waitcnt_depctr 0xfff
	v_fma_f32 v21, -v2, v5, 1.0
	v_fmac_f32_e32 v5, v21, v5
	v_div_scale_f32 v21, vcc_lo, v1, s10, v1
	s_delay_alu instid0(VALU_DEP_1) | instskip(NEXT) | instid1(VALU_DEP_1)
	v_mul_f32_e32 v22, v21, v5
	v_fma_f32 v23, -v2, v22, v21
	s_delay_alu instid0(VALU_DEP_1) | instskip(NEXT) | instid1(VALU_DEP_1)
	v_fmac_f32_e32 v22, v23, v5
	v_fma_f32 v2, -v2, v22, v21
	s_delay_alu instid0(VALU_DEP_1) | instskip(NEXT) | instid1(VALU_DEP_1)
	v_div_fmas_f32 v2, v2, v5, v22
	v_div_fixup_f32 v21, v2, s10, v1
	s_delay_alu instid0(VALU_DEP_1) | instskip(SKIP_1) | instid1(VALU_DEP_2)
	v_lshrrev_b32_e32 v23, 24, v21
	v_and_b32_e32 v5, 0x7f800000, v21
	v_or_b32_e32 v1, 0x7f, v23
	s_delay_alu instid0(VALU_DEP_2)
	v_cmpx_ne_u64_e32 0x7f800000, v[5:6]
	s_xor_b32 s30, exec_lo, s0
	s_cbranch_execz .LBB1_77
; %bb.66:                               ;   in Loop: Header=BB1_29 Depth=2
	v_and_b32_e32 v5, 0x7fffffff, v21
	s_mov_b32 s0, exec_lo
	s_delay_alu instid0(VALU_DEP_1)
	v_cmpx_gt_u64_e32 0x43700001, v[5:6]
	s_xor_b32 s31, exec_lo, s0
	s_cbranch_execz .LBB1_76
; %bb.67:                               ;   in Loop: Header=BB1_29 Depth=2
	s_mov_b32 s33, exec_lo
	v_mov_b32_e32 v1, 0
	v_mov_b32_e32 v2, 0
	v_cmpx_ne_u32_e32 0, v21
	s_cbranch_execz .LBB1_75
; %bb.68:                               ;   in Loop: Header=BB1_29 Depth=2
	v_bfe_u32 v24, v21, 23, 8
	v_dual_mov_b32 v22, v6 :: v_dual_and_b32 v5, 0x7fffff, v21
	s_delay_alu instid0(VALU_DEP_2) | instskip(SKIP_1) | instid1(VALU_DEP_3)
	v_sub_nc_u32_e32 v1, 0x78, v24
	v_cmp_gt_u32_e32 vcc_lo, 0x79, v24
	v_or_b32_e32 v21, 0x800000, v5
	s_delay_alu instid0(VALU_DEP_3) | instskip(SKIP_1) | instid1(VALU_DEP_2)
	v_cndmask_b32_e32 v1, 0, v1, vcc_lo
	v_cmp_eq_u32_e32 vcc_lo, 0, v24
	v_cndmask_b32_e64 v25, v1, 0x77, vcc_lo
	s_delay_alu instid0(VALU_DEP_4) | instskip(NEXT) | instid1(VALU_DEP_2)
	v_cndmask_b32_e32 v5, v21, v5, vcc_lo
	v_add_nc_u32_e32 v1, 20, v25
	s_delay_alu instid0(VALU_DEP_1) | instskip(SKIP_1) | instid1(VALU_DEP_2)
	v_lshlrev_b64 v[1:2], v1, -1
	v_add_nc_u32_e32 v2, 19, v25
	v_not_b32_e32 v1, v1
	s_delay_alu instid0(VALU_DEP_2) | instskip(NEXT) | instid1(VALU_DEP_2)
	v_lshlrev_b64 v[34:35], v2, 1
	v_and_b32_e32 v21, v5, v1
	v_lshrrev_b64 v[1:2], v25, v[5:6]
	s_delay_alu instid0(VALU_DEP_2) | instskip(NEXT) | instid1(VALU_DEP_2)
	v_cmp_eq_u64_e64 s0, v[21:22], v[34:35]
	v_dual_mov_b32 v22, v2 :: v_dual_mov_b32 v21, v1
	s_delay_alu instid0(VALU_DEP_2)
	s_and_saveexec_b32 s34, s0
; %bb.69:                               ;   in Loop: Header=BB1_29 Depth=2
	v_bfe_u32 v5, v1, 20, 1
	s_delay_alu instid0(VALU_DEP_1) | instskip(NEXT) | instid1(VALU_DEP_1)
	v_add_co_u32 v5, s0, v1, v5
	v_add_co_u32 v21, s0, v5, -1
; %bb.70:                               ;   in Loop: Header=BB1_29 Depth=2
	s_or_b32 exec_lo, exec_lo, s34
	v_add_nc_u32_e32 v5, 0xffffff81, v24
	v_lshrrev_b32_e32 v22, 23, v1
	s_mov_b32 s0, exec_lo
	s_delay_alu instid0(VALU_DEP_2) | instskip(NEXT) | instid1(VALU_DEP_1)
	v_cndmask_b32_e64 v5, v5, 0xffffff82, vcc_lo
	v_add3_u32 v22, v25, v5, v22
	v_and_b32_e32 v5, 0xfffff, v21
	s_delay_alu instid0(VALU_DEP_2) | instskip(NEXT) | instid1(VALU_DEP_2)
	v_add_nc_u32_e32 v21, 7, v22
	v_add_co_u32 v1, vcc_lo, v5, v1
	v_add_co_ci_u32_e32 v2, vcc_lo, 0, v2, vcc_lo
                                        ; implicit-def: $vgpr5
	s_delay_alu instid0(VALU_DEP_3)
	v_cmpx_ne_u32_e32 0, v21
	s_xor_b32 s0, exec_lo, s0
; %bb.71:                               ;   in Loop: Header=BB1_29 Depth=2
	s_delay_alu instid0(VALU_DEP_2) | instskip(SKIP_1) | instid1(VALU_DEP_1)
	v_cmp_lt_u64_e32 vcc_lo, 0xffffff, v[1:2]
	v_add_nc_u32_e32 v5, 8, v22
	v_cndmask_b32_e32 v5, v21, v5, vcc_lo
	v_cndmask_b32_e64 v21, 0, 1, vcc_lo
	s_delay_alu instid0(VALU_DEP_1)
	v_lshrrev_b64 v[1:2], v21, v[1:2]
; %bb.72:                               ;   in Loop: Header=BB1_29 Depth=2
	s_and_not1_saveexec_b32 s0, s0
; %bb.73:                               ;   in Loop: Header=BB1_29 Depth=2
	s_delay_alu instid0(VALU_DEP_1)
	v_bfe_u32 v5, v1, 23, 1
; %bb.74:                               ;   in Loop: Header=BB1_29 Depth=2
	s_or_b32 exec_lo, exec_lo, s0
	s_delay_alu instid0(VALU_DEP_2) | instskip(NEXT) | instid1(VALU_DEP_2)
	v_lshrrev_b64 v[1:2], 20, v[1:2]
	v_cmp_gt_i32_e32 vcc_lo, 16, v5
	v_and_b32_e32 v21, 0x80, v23
	v_min_i32_e32 v22, 15, v5
	v_cmp_eq_u32_e64 s0, 0, v5
	v_dual_cndmask_b32 v2, 0, v2 :: v_dual_cndmask_b32 v1, 7, v1
	s_delay_alu instid0(VALU_DEP_3) | instskip(NEXT) | instid1(VALU_DEP_2)
	v_lshl_or_b32 v21, v22, 3, v21
	v_cmp_eq_u64_e32 vcc_lo, 0, v[1:2]
	s_delay_alu instid0(VALU_DEP_2)
	v_and_or_b32 v1, v1, 7, v21
	s_and_b32 s0, s0, vcc_lo
	s_delay_alu instid0(VALU_DEP_1) | instid1(SALU_CYCLE_1)
	v_cndmask_b32_e64 v1, v1, 0, s0
.LBB1_75:                               ;   in Loop: Header=BB1_29 Depth=2
	s_or_b32 exec_lo, exec_lo, s33
.LBB1_76:                               ;   in Loop: Header=BB1_29 Depth=2
	s_and_not1_saveexec_b32 s0, s31
	s_delay_alu instid0(SALU_CYCLE_1)
	s_or_b32 exec_lo, exec_lo, s0
.LBB1_77:                               ;   in Loop: Header=BB1_29 Depth=2
	s_and_not1_saveexec_b32 s0, s30
	s_delay_alu instid0(SALU_CYCLE_1) | instskip(SKIP_2) | instid1(VALU_DEP_1)
	s_or_b32 exec_lo, exec_lo, s0
	v_lshlrev_b32_e32 v2, 16, v3
	s_mov_b32 s0, exec_lo
	v_div_scale_f32 v5, null, s10, s10, v2
	s_delay_alu instid0(VALU_DEP_1) | instskip(SKIP_2) | instid1(VALU_DEP_1)
	v_rcp_f32_e32 v21, v5
	s_waitcnt_depctr 0xfff
	v_fma_f32 v22, -v5, v21, 1.0
	v_fmac_f32_e32 v21, v22, v21
	v_div_scale_f32 v22, vcc_lo, v2, s10, v2
	s_delay_alu instid0(VALU_DEP_1) | instskip(NEXT) | instid1(VALU_DEP_1)
	v_mul_f32_e32 v23, v22, v21
	v_fma_f32 v24, -v5, v23, v22
	s_delay_alu instid0(VALU_DEP_1) | instskip(NEXT) | instid1(VALU_DEP_1)
	v_fmac_f32_e32 v23, v24, v21
	v_fma_f32 v5, -v5, v23, v22
	s_delay_alu instid0(VALU_DEP_1) | instskip(NEXT) | instid1(VALU_DEP_1)
	v_div_fmas_f32 v5, v5, v21, v23
	v_div_fixup_f32 v23, v5, s10, v2
	s_delay_alu instid0(VALU_DEP_1) | instskip(SKIP_1) | instid1(VALU_DEP_2)
	v_lshrrev_b32_e32 v2, 24, v23
	v_and_b32_e32 v5, 0x7f800000, v23
	v_or_b32_e32 v21, 0x7f, v2
	s_delay_alu instid0(VALU_DEP_2)
	v_cmpx_ne_u64_e32 0x7f800000, v[5:6]
	s_xor_b32 s30, exec_lo, s0
	s_cbranch_execz .LBB1_89
; %bb.78:                               ;   in Loop: Header=BB1_29 Depth=2
	v_and_b32_e32 v5, 0x7fffffff, v23
	s_mov_b32 s0, exec_lo
	s_delay_alu instid0(VALU_DEP_1)
	v_cmpx_gt_u64_e32 0x43700001, v[5:6]
	s_xor_b32 s31, exec_lo, s0
	s_cbranch_execz .LBB1_88
; %bb.79:                               ;   in Loop: Header=BB1_29 Depth=2
	s_mov_b32 s33, exec_lo
	v_mov_b32_e32 v21, 0
	v_mov_b32_e32 v22, 0
	v_cmpx_ne_u32_e32 0, v23
	s_cbranch_execz .LBB1_87
; %bb.80:                               ;   in Loop: Header=BB1_29 Depth=2
	v_bfe_u32 v25, v23, 23, 8
	v_mov_b32_e32 v24, v6
	s_delay_alu instid0(VALU_DEP_2) | instskip(SKIP_1) | instid1(VALU_DEP_2)
	v_sub_nc_u32_e32 v5, 0x78, v25
	v_cmp_gt_u32_e32 vcc_lo, 0x79, v25
	v_cndmask_b32_e32 v5, 0, v5, vcc_lo
	v_cmp_eq_u32_e32 vcc_lo, 0, v25
	s_delay_alu instid0(VALU_DEP_2) | instskip(SKIP_1) | instid1(VALU_DEP_2)
	v_cndmask_b32_e64 v34, v5, 0x77, vcc_lo
	v_and_b32_e32 v5, 0x7fffff, v23
	v_add_nc_u32_e32 v21, 20, v34
	s_delay_alu instid0(VALU_DEP_2) | instskip(NEXT) | instid1(VALU_DEP_2)
	v_or_b32_e32 v23, 0x800000, v5
	v_lshlrev_b64 v[21:22], v21, -1
	s_delay_alu instid0(VALU_DEP_2) | instskip(NEXT) | instid1(VALU_DEP_2)
	v_dual_cndmask_b32 v5, v23, v5 :: v_dual_add_nc_u32 v22, 19, v34
	v_not_b32_e32 v21, v21
	s_delay_alu instid0(VALU_DEP_2) | instskip(NEXT) | instid1(VALU_DEP_2)
	v_lshlrev_b64 v[35:36], v22, 1
	v_and_b32_e32 v23, v5, v21
	v_lshrrev_b64 v[21:22], v34, v[5:6]
	s_delay_alu instid0(VALU_DEP_2) | instskip(NEXT) | instid1(VALU_DEP_2)
	v_cmp_eq_u64_e64 s0, v[23:24], v[35:36]
	v_dual_mov_b32 v24, v22 :: v_dual_mov_b32 v23, v21
	s_delay_alu instid0(VALU_DEP_2)
	s_and_saveexec_b32 s34, s0
; %bb.81:                               ;   in Loop: Header=BB1_29 Depth=2
	v_bfe_u32 v5, v21, 20, 1
	s_delay_alu instid0(VALU_DEP_1) | instskip(NEXT) | instid1(VALU_DEP_1)
	v_add_co_u32 v5, s0, v21, v5
	v_add_co_u32 v23, s0, v5, -1
; %bb.82:                               ;   in Loop: Header=BB1_29 Depth=2
	s_or_b32 exec_lo, exec_lo, s34
	v_add_nc_u32_e32 v5, 0xffffff81, v25
	v_lshrrev_b32_e32 v24, 23, v21
	s_mov_b32 s0, exec_lo
	s_delay_alu instid0(VALU_DEP_2) | instskip(NEXT) | instid1(VALU_DEP_1)
	v_cndmask_b32_e64 v5, v5, 0xffffff82, vcc_lo
	v_add3_u32 v24, v34, v5, v24
	v_and_b32_e32 v5, 0xfffff, v23
	s_delay_alu instid0(VALU_DEP_2) | instskip(NEXT) | instid1(VALU_DEP_2)
	v_add_nc_u32_e32 v23, 7, v24
	v_add_co_u32 v21, vcc_lo, v5, v21
	v_add_co_ci_u32_e32 v22, vcc_lo, 0, v22, vcc_lo
                                        ; implicit-def: $vgpr5
	s_delay_alu instid0(VALU_DEP_3)
	v_cmpx_ne_u32_e32 0, v23
	s_xor_b32 s0, exec_lo, s0
; %bb.83:                               ;   in Loop: Header=BB1_29 Depth=2
	s_delay_alu instid0(VALU_DEP_2) | instskip(SKIP_1) | instid1(VALU_DEP_1)
	v_cmp_lt_u64_e32 vcc_lo, 0xffffff, v[21:22]
	v_add_nc_u32_e32 v5, 8, v24
	v_cndmask_b32_e32 v5, v23, v5, vcc_lo
	v_cndmask_b32_e64 v23, 0, 1, vcc_lo
	s_delay_alu instid0(VALU_DEP_1)
	v_lshrrev_b64 v[21:22], v23, v[21:22]
; %bb.84:                               ;   in Loop: Header=BB1_29 Depth=2
	s_and_not1_saveexec_b32 s0, s0
; %bb.85:                               ;   in Loop: Header=BB1_29 Depth=2
	s_delay_alu instid0(VALU_DEP_1)
	v_bfe_u32 v5, v21, 23, 1
; %bb.86:                               ;   in Loop: Header=BB1_29 Depth=2
	s_or_b32 exec_lo, exec_lo, s0
	s_delay_alu instid0(VALU_DEP_2) | instskip(NEXT) | instid1(VALU_DEP_2)
	v_lshrrev_b64 v[21:22], 20, v[21:22]
	v_cmp_gt_i32_e32 vcc_lo, 16, v5
	v_and_b32_e32 v2, 0x80, v2
	v_min_i32_e32 v23, 15, v5
	v_cmp_eq_u32_e64 s0, 0, v5
	v_dual_cndmask_b32 v21, 7, v21 :: v_dual_cndmask_b32 v22, 0, v22
	s_delay_alu instid0(VALU_DEP_3) | instskip(NEXT) | instid1(VALU_DEP_2)
	v_lshl_or_b32 v2, v23, 3, v2
	v_cmp_eq_u64_e32 vcc_lo, 0, v[21:22]
	s_delay_alu instid0(VALU_DEP_2)
	v_and_or_b32 v2, v21, 7, v2
	s_and_b32 s0, s0, vcc_lo
	s_delay_alu instid0(VALU_DEP_1) | instid1(SALU_CYCLE_1)
	v_cndmask_b32_e64 v21, v2, 0, s0
.LBB1_87:                               ;   in Loop: Header=BB1_29 Depth=2
	s_or_b32 exec_lo, exec_lo, s33
.LBB1_88:                               ;   in Loop: Header=BB1_29 Depth=2
	s_and_not1_saveexec_b32 s0, s31
	s_delay_alu instid0(SALU_CYCLE_1)
	s_or_b32 exec_lo, exec_lo, s0
.LBB1_89:                               ;   in Loop: Header=BB1_29 Depth=2
	s_and_not1_saveexec_b32 s0, s30
	s_delay_alu instid0(SALU_CYCLE_1) | instskip(SKIP_2) | instid1(VALU_DEP_1)
	s_or_b32 exec_lo, exec_lo, s0
	v_and_b32_e32 v2, 0xffff0000, v3
	s_mov_b32 s0, exec_lo
	v_div_scale_f32 v3, null, s10, s10, v2
	s_delay_alu instid0(VALU_DEP_1) | instskip(SKIP_2) | instid1(VALU_DEP_1)
	v_rcp_f32_e32 v5, v3
	s_waitcnt_depctr 0xfff
	v_fma_f32 v22, -v3, v5, 1.0
	v_fmac_f32_e32 v5, v22, v5
	v_div_scale_f32 v22, vcc_lo, v2, s10, v2
	s_delay_alu instid0(VALU_DEP_1) | instskip(NEXT) | instid1(VALU_DEP_1)
	v_mul_f32_e32 v23, v22, v5
	v_fma_f32 v24, -v3, v23, v22
	s_delay_alu instid0(VALU_DEP_1) | instskip(NEXT) | instid1(VALU_DEP_1)
	v_fmac_f32_e32 v23, v24, v5
	v_fma_f32 v3, -v3, v23, v22
	s_delay_alu instid0(VALU_DEP_1) | instskip(NEXT) | instid1(VALU_DEP_1)
	v_div_fmas_f32 v3, v3, v5, v23
	v_div_fixup_f32 v22, v3, s10, v2
	s_delay_alu instid0(VALU_DEP_1) | instskip(SKIP_1) | instid1(VALU_DEP_2)
	v_lshrrev_b32_e32 v24, 24, v22
	v_and_b32_e32 v5, 0x7f800000, v22
	v_or_b32_e32 v2, 0x7f, v24
	s_delay_alu instid0(VALU_DEP_2)
	v_cmpx_ne_u64_e32 0x7f800000, v[5:6]
	s_xor_b32 s30, exec_lo, s0
	s_cbranch_execz .LBB1_101
; %bb.90:                               ;   in Loop: Header=BB1_29 Depth=2
	v_and_b32_e32 v5, 0x7fffffff, v22
	s_mov_b32 s0, exec_lo
	s_delay_alu instid0(VALU_DEP_1)
	v_cmpx_gt_u64_e32 0x43700001, v[5:6]
	s_xor_b32 s31, exec_lo, s0
	s_cbranch_execz .LBB1_100
; %bb.91:                               ;   in Loop: Header=BB1_29 Depth=2
	s_mov_b32 s33, exec_lo
	v_mov_b32_e32 v2, 0
	v_mov_b32_e32 v3, 0
	v_cmpx_ne_u32_e32 0, v22
	s_cbranch_execz .LBB1_99
; %bb.92:                               ;   in Loop: Header=BB1_29 Depth=2
	v_bfe_u32 v25, v22, 23, 8
	v_and_b32_e32 v5, 0x7fffff, v22
	v_mov_b32_e32 v23, v6
	s_delay_alu instid0(VALU_DEP_3) | instskip(SKIP_1) | instid1(VALU_DEP_4)
	v_sub_nc_u32_e32 v2, 0x78, v25
	v_cmp_gt_u32_e32 vcc_lo, 0x79, v25
	v_or_b32_e32 v22, 0x800000, v5
	s_delay_alu instid0(VALU_DEP_3) | instskip(SKIP_1) | instid1(VALU_DEP_3)
	v_cndmask_b32_e32 v2, 0, v2, vcc_lo
	v_cmp_eq_u32_e32 vcc_lo, 0, v25
	v_cndmask_b32_e32 v5, v22, v5, vcc_lo
	s_delay_alu instid0(VALU_DEP_3) | instskip(NEXT) | instid1(VALU_DEP_1)
	v_cndmask_b32_e64 v34, v2, 0x77, vcc_lo
	v_add_nc_u32_e32 v2, 20, v34
	s_delay_alu instid0(VALU_DEP_1) | instskip(SKIP_1) | instid1(VALU_DEP_2)
	v_lshlrev_b64 v[2:3], v2, -1
	v_add_nc_u32_e32 v3, 19, v34
	v_not_b32_e32 v2, v2
	s_delay_alu instid0(VALU_DEP_2) | instskip(NEXT) | instid1(VALU_DEP_2)
	v_lshlrev_b64 v[35:36], v3, 1
	v_and_b32_e32 v22, v5, v2
	v_lshrrev_b64 v[2:3], v34, v[5:6]
	s_delay_alu instid0(VALU_DEP_2) | instskip(NEXT) | instid1(VALU_DEP_2)
	v_cmp_eq_u64_e64 s0, v[22:23], v[35:36]
	v_dual_mov_b32 v23, v3 :: v_dual_mov_b32 v22, v2
	s_delay_alu instid0(VALU_DEP_2)
	s_and_saveexec_b32 s34, s0
; %bb.93:                               ;   in Loop: Header=BB1_29 Depth=2
	v_bfe_u32 v5, v2, 20, 1
	s_delay_alu instid0(VALU_DEP_1) | instskip(NEXT) | instid1(VALU_DEP_1)
	v_add_co_u32 v5, s0, v2, v5
	v_add_co_u32 v22, s0, v5, -1
; %bb.94:                               ;   in Loop: Header=BB1_29 Depth=2
	s_or_b32 exec_lo, exec_lo, s34
	v_add_nc_u32_e32 v5, 0xffffff81, v25
	v_lshrrev_b32_e32 v23, 23, v2
	s_mov_b32 s0, exec_lo
	s_delay_alu instid0(VALU_DEP_2) | instskip(NEXT) | instid1(VALU_DEP_1)
	v_cndmask_b32_e64 v5, v5, 0xffffff82, vcc_lo
	v_add3_u32 v23, v34, v5, v23
	v_and_b32_e32 v5, 0xfffff, v22
	s_delay_alu instid0(VALU_DEP_2) | instskip(NEXT) | instid1(VALU_DEP_2)
	v_add_nc_u32_e32 v22, 7, v23
	v_add_co_u32 v2, vcc_lo, v5, v2
	v_add_co_ci_u32_e32 v3, vcc_lo, 0, v3, vcc_lo
                                        ; implicit-def: $vgpr5
	s_delay_alu instid0(VALU_DEP_3)
	v_cmpx_ne_u32_e32 0, v22
	s_xor_b32 s0, exec_lo, s0
; %bb.95:                               ;   in Loop: Header=BB1_29 Depth=2
	s_delay_alu instid0(VALU_DEP_2) | instskip(SKIP_1) | instid1(VALU_DEP_1)
	v_cmp_lt_u64_e32 vcc_lo, 0xffffff, v[2:3]
	v_add_nc_u32_e32 v5, 8, v23
	v_cndmask_b32_e32 v5, v22, v5, vcc_lo
	v_cndmask_b32_e64 v22, 0, 1, vcc_lo
	s_delay_alu instid0(VALU_DEP_1)
	v_lshrrev_b64 v[2:3], v22, v[2:3]
; %bb.96:                               ;   in Loop: Header=BB1_29 Depth=2
	s_and_not1_saveexec_b32 s0, s0
; %bb.97:                               ;   in Loop: Header=BB1_29 Depth=2
	s_delay_alu instid0(VALU_DEP_1)
	v_bfe_u32 v5, v2, 23, 1
; %bb.98:                               ;   in Loop: Header=BB1_29 Depth=2
	s_or_b32 exec_lo, exec_lo, s0
	s_delay_alu instid0(VALU_DEP_2) | instskip(NEXT) | instid1(VALU_DEP_2)
	v_lshrrev_b64 v[2:3], 20, v[2:3]
	v_cmp_gt_i32_e32 vcc_lo, 16, v5
	v_and_b32_e32 v22, 0x80, v24
	v_min_i32_e32 v23, 15, v5
	v_cmp_eq_u32_e64 s0, 0, v5
	v_dual_cndmask_b32 v3, 0, v3 :: v_dual_cndmask_b32 v2, 7, v2
	s_delay_alu instid0(VALU_DEP_3) | instskip(NEXT) | instid1(VALU_DEP_2)
	v_lshl_or_b32 v22, v23, 3, v22
	v_cmp_eq_u64_e32 vcc_lo, 0, v[2:3]
	s_delay_alu instid0(VALU_DEP_2)
	v_and_or_b32 v2, v2, 7, v22
	s_and_b32 s0, s0, vcc_lo
	s_delay_alu instid0(VALU_DEP_1) | instid1(SALU_CYCLE_1)
	v_cndmask_b32_e64 v2, v2, 0, s0
.LBB1_99:                               ;   in Loop: Header=BB1_29 Depth=2
	s_or_b32 exec_lo, exec_lo, s33
.LBB1_100:                              ;   in Loop: Header=BB1_29 Depth=2
	s_and_not1_saveexec_b32 s0, s31
	s_delay_alu instid0(SALU_CYCLE_1)
	s_or_b32 exec_lo, exec_lo, s0
.LBB1_101:                              ;   in Loop: Header=BB1_29 Depth=2
	s_and_not1_saveexec_b32 s0, s30
	s_delay_alu instid0(SALU_CYCLE_1) | instskip(SKIP_2) | instid1(VALU_DEP_1)
	s_or_b32 exec_lo, exec_lo, s0
	v_lshlrev_b32_e32 v3, 16, v4
	s_mov_b32 s0, exec_lo
	v_div_scale_f32 v5, null, s10, s10, v3
	s_delay_alu instid0(VALU_DEP_1) | instskip(SKIP_2) | instid1(VALU_DEP_1)
	v_rcp_f32_e32 v22, v5
	s_waitcnt_depctr 0xfff
	v_fma_f32 v23, -v5, v22, 1.0
	v_fmac_f32_e32 v22, v23, v22
	v_div_scale_f32 v23, vcc_lo, v3, s10, v3
	s_delay_alu instid0(VALU_DEP_1) | instskip(NEXT) | instid1(VALU_DEP_1)
	v_mul_f32_e32 v24, v23, v22
	v_fma_f32 v25, -v5, v24, v23
	s_delay_alu instid0(VALU_DEP_1) | instskip(NEXT) | instid1(VALU_DEP_1)
	v_fmac_f32_e32 v24, v25, v22
	v_fma_f32 v5, -v5, v24, v23
	s_delay_alu instid0(VALU_DEP_1) | instskip(NEXT) | instid1(VALU_DEP_1)
	v_div_fmas_f32 v5, v5, v22, v24
	v_div_fixup_f32 v24, v5, s10, v3
	s_delay_alu instid0(VALU_DEP_1) | instskip(SKIP_1) | instid1(VALU_DEP_2)
	v_lshrrev_b32_e32 v3, 24, v24
	v_and_b32_e32 v5, 0x7f800000, v24
	v_or_b32_e32 v22, 0x7f, v3
	s_delay_alu instid0(VALU_DEP_2)
	v_cmpx_ne_u64_e32 0x7f800000, v[5:6]
	s_xor_b32 s30, exec_lo, s0
	s_cbranch_execz .LBB1_113
; %bb.102:                              ;   in Loop: Header=BB1_29 Depth=2
	v_and_b32_e32 v5, 0x7fffffff, v24
	s_mov_b32 s0, exec_lo
	s_delay_alu instid0(VALU_DEP_1)
	v_cmpx_gt_u64_e32 0x43700001, v[5:6]
	s_xor_b32 s31, exec_lo, s0
	s_cbranch_execz .LBB1_112
; %bb.103:                              ;   in Loop: Header=BB1_29 Depth=2
	s_mov_b32 s33, exec_lo
	v_mov_b32_e32 v22, 0
	v_mov_b32_e32 v23, 0
	v_cmpx_ne_u32_e32 0, v24
	s_cbranch_execz .LBB1_111
; %bb.104:                              ;   in Loop: Header=BB1_29 Depth=2
	v_bfe_u32 v34, v24, 23, 8
	s_delay_alu instid0(VALU_DEP_1) | instskip(SKIP_1) | instid1(VALU_DEP_2)
	v_sub_nc_u32_e32 v5, 0x78, v34
	v_cmp_gt_u32_e32 vcc_lo, 0x79, v34
	v_cndmask_b32_e32 v5, 0, v5, vcc_lo
	v_cmp_eq_u32_e32 vcc_lo, 0, v34
	s_delay_alu instid0(VALU_DEP_2) | instskip(SKIP_1) | instid1(VALU_DEP_2)
	v_cndmask_b32_e64 v35, v5, 0x77, vcc_lo
	v_and_b32_e32 v5, 0x7fffff, v24
	v_add_nc_u32_e32 v22, 20, v35
	s_delay_alu instid0(VALU_DEP_2) | instskip(NEXT) | instid1(VALU_DEP_2)
	v_or_b32_e32 v24, 0x800000, v5
	v_lshlrev_b64 v[22:23], v22, -1
	s_delay_alu instid0(VALU_DEP_2) | instskip(SKIP_1) | instid1(VALU_DEP_3)
	v_cndmask_b32_e32 v5, v24, v5, vcc_lo
	v_add_nc_u32_e32 v23, 19, v35
	v_not_b32_e32 v22, v22
	v_mov_b32_e32 v25, v6
	s_delay_alu instid0(VALU_DEP_3) | instskip(NEXT) | instid1(VALU_DEP_3)
	v_lshlrev_b64 v[36:37], v23, 1
	v_and_b32_e32 v24, v5, v22
	v_lshrrev_b64 v[22:23], v35, v[5:6]
	s_delay_alu instid0(VALU_DEP_2) | instskip(NEXT) | instid1(VALU_DEP_2)
	v_cmp_eq_u64_e64 s0, v[24:25], v[36:37]
	v_dual_mov_b32 v25, v23 :: v_dual_mov_b32 v24, v22
	s_delay_alu instid0(VALU_DEP_2)
	s_and_saveexec_b32 s34, s0
; %bb.105:                              ;   in Loop: Header=BB1_29 Depth=2
	v_bfe_u32 v5, v22, 20, 1
	s_delay_alu instid0(VALU_DEP_1) | instskip(NEXT) | instid1(VALU_DEP_1)
	v_add_co_u32 v5, s0, v22, v5
	v_add_co_u32 v24, s0, v5, -1
; %bb.106:                              ;   in Loop: Header=BB1_29 Depth=2
	s_or_b32 exec_lo, exec_lo, s34
	v_add_nc_u32_e32 v5, 0xffffff81, v34
	v_lshrrev_b32_e32 v25, 23, v22
	s_mov_b32 s0, exec_lo
	s_delay_alu instid0(VALU_DEP_2) | instskip(NEXT) | instid1(VALU_DEP_1)
	v_cndmask_b32_e64 v5, v5, 0xffffff82, vcc_lo
	v_add3_u32 v25, v35, v5, v25
	v_and_b32_e32 v5, 0xfffff, v24
	s_delay_alu instid0(VALU_DEP_2) | instskip(NEXT) | instid1(VALU_DEP_2)
	v_add_nc_u32_e32 v24, 7, v25
	v_add_co_u32 v22, vcc_lo, v5, v22
	v_add_co_ci_u32_e32 v23, vcc_lo, 0, v23, vcc_lo
                                        ; implicit-def: $vgpr5
	s_delay_alu instid0(VALU_DEP_3)
	v_cmpx_ne_u32_e32 0, v24
	s_xor_b32 s0, exec_lo, s0
; %bb.107:                              ;   in Loop: Header=BB1_29 Depth=2
	s_delay_alu instid0(VALU_DEP_2) | instskip(SKIP_1) | instid1(VALU_DEP_1)
	v_cmp_lt_u64_e32 vcc_lo, 0xffffff, v[22:23]
	v_add_nc_u32_e32 v5, 8, v25
	v_cndmask_b32_e32 v5, v24, v5, vcc_lo
	v_cndmask_b32_e64 v24, 0, 1, vcc_lo
	s_delay_alu instid0(VALU_DEP_1)
	v_lshrrev_b64 v[22:23], v24, v[22:23]
; %bb.108:                              ;   in Loop: Header=BB1_29 Depth=2
	s_and_not1_saveexec_b32 s0, s0
; %bb.109:                              ;   in Loop: Header=BB1_29 Depth=2
	s_delay_alu instid0(VALU_DEP_1)
	v_bfe_u32 v5, v22, 23, 1
; %bb.110:                              ;   in Loop: Header=BB1_29 Depth=2
	s_or_b32 exec_lo, exec_lo, s0
	s_delay_alu instid0(VALU_DEP_2) | instskip(NEXT) | instid1(VALU_DEP_2)
	v_lshrrev_b64 v[22:23], 20, v[22:23]
	v_cmp_gt_i32_e32 vcc_lo, 16, v5
	v_and_b32_e32 v3, 0x80, v3
	v_min_i32_e32 v24, 15, v5
	v_cmp_eq_u32_e64 s0, 0, v5
	v_dual_cndmask_b32 v22, 7, v22 :: v_dual_cndmask_b32 v23, 0, v23
	s_delay_alu instid0(VALU_DEP_3) | instskip(NEXT) | instid1(VALU_DEP_2)
	v_lshl_or_b32 v3, v24, 3, v3
	v_cmp_eq_u64_e32 vcc_lo, 0, v[22:23]
	s_delay_alu instid0(VALU_DEP_2)
	v_and_or_b32 v3, v22, 7, v3
	s_and_b32 s0, s0, vcc_lo
	s_delay_alu instid0(VALU_DEP_1) | instid1(SALU_CYCLE_1)
	v_cndmask_b32_e64 v22, v3, 0, s0
.LBB1_111:                              ;   in Loop: Header=BB1_29 Depth=2
	s_or_b32 exec_lo, exec_lo, s33
.LBB1_112:                              ;   in Loop: Header=BB1_29 Depth=2
	s_and_not1_saveexec_b32 s0, s31
	s_delay_alu instid0(SALU_CYCLE_1)
	s_or_b32 exec_lo, exec_lo, s0
.LBB1_113:                              ;   in Loop: Header=BB1_29 Depth=2
	s_and_not1_saveexec_b32 s0, s30
	s_delay_alu instid0(SALU_CYCLE_1) | instskip(SKIP_2) | instid1(VALU_DEP_1)
	s_or_b32 exec_lo, exec_lo, s0
	v_and_b32_e32 v3, 0xffff0000, v4
	s_mov_b32 s0, exec_lo
	v_div_scale_f32 v4, null, s10, s10, v3
	s_delay_alu instid0(VALU_DEP_1) | instskip(SKIP_2) | instid1(VALU_DEP_1)
	v_rcp_f32_e32 v5, v4
	s_waitcnt_depctr 0xfff
	v_fma_f32 v23, -v4, v5, 1.0
	v_fmac_f32_e32 v5, v23, v5
	v_div_scale_f32 v23, vcc_lo, v3, s10, v3
	s_delay_alu instid0(VALU_DEP_1) | instskip(NEXT) | instid1(VALU_DEP_1)
	v_mul_f32_e32 v24, v23, v5
	v_fma_f32 v25, -v4, v24, v23
	s_delay_alu instid0(VALU_DEP_1) | instskip(NEXT) | instid1(VALU_DEP_1)
	v_fmac_f32_e32 v24, v25, v5
	v_fma_f32 v4, -v4, v24, v23
	s_delay_alu instid0(VALU_DEP_1) | instskip(NEXT) | instid1(VALU_DEP_1)
	v_div_fmas_f32 v4, v4, v5, v24
	v_div_fixup_f32 v23, v4, s10, v3
	s_delay_alu instid0(VALU_DEP_1) | instskip(SKIP_1) | instid1(VALU_DEP_1)
	v_and_b32_e32 v5, 0x7f800000, v23
	v_lshrrev_b32_e32 v25, 24, v23
	v_or_b32_e32 v3, 0x7f, v25
	s_delay_alu instid0(VALU_DEP_3)
	v_cmpx_ne_u64_e32 0x7f800000, v[5:6]
	s_xor_b32 s30, exec_lo, s0
	s_cbranch_execz .LBB1_28
; %bb.114:                              ;   in Loop: Header=BB1_29 Depth=2
	v_and_b32_e32 v5, 0x7fffffff, v23
	s_mov_b32 s0, exec_lo
	s_delay_alu instid0(VALU_DEP_1)
	v_cmpx_gt_u64_e32 0x43700001, v[5:6]
	s_xor_b32 s31, exec_lo, s0
	s_cbranch_execz .LBB1_27
; %bb.115:                              ;   in Loop: Header=BB1_29 Depth=2
	s_mov_b32 s33, exec_lo
	v_mov_b32_e32 v3, 0
	v_mov_b32_e32 v4, 0
	v_cmpx_ne_u32_e32 0, v23
	s_cbranch_execz .LBB1_26
; %bb.116:                              ;   in Loop: Header=BB1_29 Depth=2
	v_bfe_u32 v34, v23, 23, 8
	v_dual_mov_b32 v24, v6 :: v_dual_and_b32 v5, 0x7fffff, v23
	s_delay_alu instid0(VALU_DEP_2) | instskip(SKIP_1) | instid1(VALU_DEP_3)
	v_sub_nc_u32_e32 v3, 0x78, v34
	v_cmp_gt_u32_e32 vcc_lo, 0x79, v34
	v_or_b32_e32 v23, 0x800000, v5
	s_delay_alu instid0(VALU_DEP_3) | instskip(SKIP_1) | instid1(VALU_DEP_2)
	v_cndmask_b32_e32 v3, 0, v3, vcc_lo
	v_cmp_eq_u32_e32 vcc_lo, 0, v34
	v_cndmask_b32_e64 v35, v3, 0x77, vcc_lo
	s_delay_alu instid0(VALU_DEP_4) | instskip(NEXT) | instid1(VALU_DEP_2)
	v_cndmask_b32_e32 v5, v23, v5, vcc_lo
	v_add_nc_u32_e32 v3, 20, v35
	s_delay_alu instid0(VALU_DEP_1) | instskip(SKIP_1) | instid1(VALU_DEP_2)
	v_lshlrev_b64 v[3:4], v3, -1
	v_add_nc_u32_e32 v4, 19, v35
	v_not_b32_e32 v3, v3
	s_delay_alu instid0(VALU_DEP_2) | instskip(NEXT) | instid1(VALU_DEP_2)
	v_lshlrev_b64 v[36:37], v4, 1
	v_and_b32_e32 v23, v5, v3
	v_lshrrev_b64 v[3:4], v35, v[5:6]
	s_delay_alu instid0(VALU_DEP_2) | instskip(NEXT) | instid1(VALU_DEP_2)
	v_cmp_eq_u64_e64 s0, v[23:24], v[36:37]
	v_dual_mov_b32 v24, v4 :: v_dual_mov_b32 v23, v3
	s_delay_alu instid0(VALU_DEP_2)
	s_and_saveexec_b32 s34, s0
; %bb.117:                              ;   in Loop: Header=BB1_29 Depth=2
	v_bfe_u32 v5, v3, 20, 1
	s_delay_alu instid0(VALU_DEP_1) | instskip(NEXT) | instid1(VALU_DEP_1)
	v_add_co_u32 v5, s0, v3, v5
	v_add_co_u32 v23, s0, v5, -1
; %bb.118:                              ;   in Loop: Header=BB1_29 Depth=2
	s_or_b32 exec_lo, exec_lo, s34
	v_add_nc_u32_e32 v5, 0xffffff81, v34
	v_lshrrev_b32_e32 v24, 23, v3
	s_mov_b32 s0, exec_lo
	s_delay_alu instid0(VALU_DEP_2) | instskip(NEXT) | instid1(VALU_DEP_1)
	v_cndmask_b32_e64 v5, v5, 0xffffff82, vcc_lo
	v_add3_u32 v24, v35, v5, v24
	v_and_b32_e32 v5, 0xfffff, v23
	s_delay_alu instid0(VALU_DEP_2) | instskip(NEXT) | instid1(VALU_DEP_2)
	v_add_nc_u32_e32 v23, 7, v24
	v_add_co_u32 v3, vcc_lo, v5, v3
	v_add_co_ci_u32_e32 v4, vcc_lo, 0, v4, vcc_lo
                                        ; implicit-def: $vgpr5
	s_delay_alu instid0(VALU_DEP_3)
	v_cmpx_ne_u32_e32 0, v23
	s_xor_b32 s0, exec_lo, s0
; %bb.119:                              ;   in Loop: Header=BB1_29 Depth=2
	s_delay_alu instid0(VALU_DEP_2) | instskip(SKIP_1) | instid1(VALU_DEP_1)
	v_cmp_lt_u64_e32 vcc_lo, 0xffffff, v[3:4]
	v_add_nc_u32_e32 v5, 8, v24
	v_cndmask_b32_e32 v5, v23, v5, vcc_lo
	v_cndmask_b32_e64 v23, 0, 1, vcc_lo
	s_delay_alu instid0(VALU_DEP_1)
	v_lshrrev_b64 v[3:4], v23, v[3:4]
; %bb.120:                              ;   in Loop: Header=BB1_29 Depth=2
	s_and_not1_saveexec_b32 s0, s0
	s_cbranch_execz .LBB1_25
; %bb.121:                              ;   in Loop: Header=BB1_29 Depth=2
	s_delay_alu instid0(VALU_DEP_1)
	v_bfe_u32 v5, v3, 23, 1
	s_branch .LBB1_25
.LBB1_122:                              ;   in Loop: Header=BB1_7 Depth=1
	s_or_b32 exec_lo, exec_lo, s25
	s_delay_alu instid0(VALU_DEP_2) | instskip(SKIP_1) | instid1(VALU_DEP_1)
	v_lshlrev_b32_e32 v1, 3, v32
	s_mov_b32 s25, exec_lo
	v_cmpx_lt_i32_e64 v1, v31
	s_cbranch_execz .LBB1_137
; %bb.123:                              ;   in Loop: Header=BB1_7 Depth=1
	v_lshlrev_b64 v[2:3], 1, v[14:15]
	s_mov_b32 s29, 0
	s_delay_alu instid0(VALU_DEP_1) | instskip(NEXT) | instid1(VALU_DEP_2)
	v_add_co_u32 v4, vcc_lo, v2, v7
	v_add_co_ci_u32_e32 v3, vcc_lo, v3, v8, vcc_lo
	v_ashrrev_i32_e32 v2, 31, v1
	s_delay_alu instid0(VALU_DEP_3) | instskip(NEXT) | instid1(VALU_DEP_3)
	v_add_co_u32 v5, vcc_lo, v4, v9
	v_add_co_ci_u32_e32 v12, vcc_lo, v3, v10, vcc_lo
	v_add_co_u32 v13, vcc_lo, v14, v27
	v_add_co_ci_u32_e32 v14, vcc_lo, v15, v28, vcc_lo
	v_lshlrev_b64 v[3:4], 1, v[1:2]
	s_delay_alu instid0(VALU_DEP_3) | instskip(NEXT) | instid1(VALU_DEP_3)
	v_add_co_u32 v13, vcc_lo, v13, v29
	v_add_co_ci_u32_e32 v14, vcc_lo, v14, v30, vcc_lo
	s_delay_alu instid0(VALU_DEP_3) | instskip(NEXT) | instid1(VALU_DEP_4)
	v_add_co_u32 v3, vcc_lo, v5, v3
	v_add_co_ci_u32_e32 v4, vcc_lo, v12, v4, vcc_lo
	s_delay_alu instid0(VALU_DEP_4) | instskip(NEXT) | instid1(VALU_DEP_4)
	v_add_co_u32 v5, vcc_lo, v13, v1
	v_add_co_ci_u32_e32 v13, vcc_lo, v14, v2, vcc_lo
	s_delay_alu instid0(VALU_DEP_4) | instskip(NEXT) | instid1(VALU_DEP_4)
	;; [unrolled: 3-line block ×3, first 2 shown]
	v_add_co_u32 v12, vcc_lo, s2, v5
	v_add_co_ci_u32_e32 v13, vcc_lo, s3, v13, vcc_lo
	s_branch .LBB1_128
.LBB1_124:                              ;   in Loop: Header=BB1_128 Depth=2
	s_or_b32 exec_lo, exec_lo, s0
	s_delay_alu instid0(VALU_DEP_1) | instskip(NEXT) | instid1(VALU_DEP_2)
	v_lshrrev_b64 v[4:5], 20, v[4:5]
	v_cmp_gt_i32_e32 vcc_lo, 16, v14
	v_and_b32_e32 v15, 0x80, v16
	v_min_i32_e32 v16, 15, v14
	v_cmp_eq_u32_e64 s0, 0, v14
	v_dual_cndmask_b32 v5, 0, v5 :: v_dual_cndmask_b32 v4, 7, v4
	s_delay_alu instid0(VALU_DEP_3) | instskip(NEXT) | instid1(VALU_DEP_2)
	v_lshl_or_b32 v15, v16, 3, v15
	v_cmp_eq_u64_e32 vcc_lo, 0, v[4:5]
	s_delay_alu instid0(VALU_DEP_2)
	v_and_or_b32 v4, v4, 7, v15
	s_and_b32 s0, s0, vcc_lo
	s_delay_alu instid0(VALU_DEP_1) | instid1(SALU_CYCLE_1)
	v_cndmask_b32_e64 v4, v4, 0, s0
.LBB1_125:                              ;   in Loop: Header=BB1_128 Depth=2
	s_or_b32 exec_lo, exec_lo, s33
.LBB1_126:                              ;   in Loop: Header=BB1_128 Depth=2
	s_and_not1_saveexec_b32 s0, s31
	s_delay_alu instid0(SALU_CYCLE_1)
	s_or_b32 exec_lo, exec_lo, s0
.LBB1_127:                              ;   in Loop: Header=BB1_128 Depth=2
	s_and_not1_saveexec_b32 s0, s30
	s_delay_alu instid0(SALU_CYCLE_1)
	s_or_b32 exec_lo, exec_lo, s0
	v_add_nc_u32_e32 v1, 1, v1
	v_add_co_u32 v2, vcc_lo, v2, 2
	v_add_co_ci_u32_e32 v3, vcc_lo, 0, v3, vcc_lo
	global_store_b8 v[12:13], v4, off
	v_cmp_ge_i32_e32 vcc_lo, v1, v31
	v_add_co_u32 v12, s0, v12, 1
	s_delay_alu instid0(VALU_DEP_1) | instskip(SKIP_1) | instid1(SALU_CYCLE_1)
	v_add_co_ci_u32_e64 v13, s0, 0, v13, s0
	s_or_b32 s29, vcc_lo, s29
	s_and_not1_b32 exec_lo, exec_lo, s29
	s_cbranch_execz .LBB1_137
.LBB1_128:                              ;   Parent Loop BB1_7 Depth=1
                                        ; =>  This Inner Loop Header: Depth=2
	global_load_u16 v4, v[2:3], off
	s_mov_b32 s0, exec_lo
	s_waitcnt vmcnt(0)
	v_lshlrev_b32_e32 v4, 16, v4
	s_delay_alu instid0(VALU_DEP_1) | instskip(NEXT) | instid1(VALU_DEP_1)
	v_div_scale_f32 v5, null, s10, s10, v4
	v_rcp_f32_e32 v14, v5
	s_waitcnt_depctr 0xfff
	v_fma_f32 v15, -v5, v14, 1.0
	s_delay_alu instid0(VALU_DEP_1) | instskip(SKIP_1) | instid1(VALU_DEP_1)
	v_fmac_f32_e32 v14, v15, v14
	v_div_scale_f32 v15, vcc_lo, v4, s10, v4
	v_mul_f32_e32 v16, v15, v14
	s_delay_alu instid0(VALU_DEP_1) | instskip(NEXT) | instid1(VALU_DEP_1)
	v_fma_f32 v17, -v5, v16, v15
	v_fmac_f32_e32 v16, v17, v14
	s_delay_alu instid0(VALU_DEP_1) | instskip(NEXT) | instid1(VALU_DEP_1)
	v_fma_f32 v5, -v5, v16, v15
	v_div_fmas_f32 v5, v5, v14, v16
	s_delay_alu instid0(VALU_DEP_1) | instskip(NEXT) | instid1(VALU_DEP_1)
	v_div_fixup_f32 v14, v5, s10, v4
	v_lshrrev_b32_e32 v16, 24, v14
	v_and_b32_e32 v5, 0x7f800000, v14
	s_delay_alu instid0(VALU_DEP_2) | instskip(NEXT) | instid1(VALU_DEP_2)
	v_or_b32_e32 v4, 0x7f, v16
	v_cmpx_ne_u64_e32 0x7f800000, v[5:6]
	s_xor_b32 s30, exec_lo, s0
	s_cbranch_execz .LBB1_127
; %bb.129:                              ;   in Loop: Header=BB1_128 Depth=2
	v_and_b32_e32 v5, 0x7fffffff, v14
	s_mov_b32 s0, exec_lo
	s_delay_alu instid0(VALU_DEP_1)
	v_cmpx_gt_u64_e32 0x43700001, v[5:6]
	s_xor_b32 s31, exec_lo, s0
	s_cbranch_execz .LBB1_126
; %bb.130:                              ;   in Loop: Header=BB1_128 Depth=2
	v_mov_b32_e32 v4, 0
	s_mov_b32 s33, exec_lo
	v_cmpx_ne_u32_e32 0, v14
	s_cbranch_execz .LBB1_125
; %bb.131:                              ;   in Loop: Header=BB1_128 Depth=2
	v_bfe_u32 v17, v14, 23, 8
	v_and_b32_e32 v14, 0x7fffff, v14
	s_delay_alu instid0(VALU_DEP_2) | instskip(SKIP_1) | instid1(VALU_DEP_3)
	v_sub_nc_u32_e32 v4, 0x78, v17
	v_cmp_gt_u32_e32 vcc_lo, 0x79, v17
	v_or_b32_e32 v15, 0x800000, v14
	s_delay_alu instid0(VALU_DEP_3) | instskip(SKIP_1) | instid1(VALU_DEP_2)
	v_cndmask_b32_e32 v4, 0, v4, vcc_lo
	v_cmp_eq_u32_e32 vcc_lo, 0, v17
	v_cndmask_b32_e64 v18, v4, 0x77, vcc_lo
	s_delay_alu instid0(VALU_DEP_1) | instskip(NEXT) | instid1(VALU_DEP_1)
	v_add_nc_u32_e32 v4, 20, v18
	v_lshlrev_b64 v[4:5], v4, -1
	v_cndmask_b32_e32 v5, v15, v14, vcc_lo
	v_dual_mov_b32 v15, v6 :: v_dual_add_nc_u32 v14, 19, v18
	s_delay_alu instid0(VALU_DEP_3) | instskip(NEXT) | instid1(VALU_DEP_2)
	v_not_b32_e32 v4, v4
	v_lshlrev_b64 v[19:20], v14, 1
	s_delay_alu instid0(VALU_DEP_2) | instskip(SKIP_1) | instid1(VALU_DEP_2)
	v_and_b32_e32 v14, v5, v4
	v_lshrrev_b64 v[4:5], v18, v[5:6]
	v_cmp_eq_u64_e64 s0, v[14:15], v[19:20]
	s_delay_alu instid0(VALU_DEP_2) | instskip(NEXT) | instid1(VALU_DEP_2)
	v_dual_mov_b32 v15, v5 :: v_dual_mov_b32 v14, v4
	s_and_saveexec_b32 s34, s0
; %bb.132:                              ;   in Loop: Header=BB1_128 Depth=2
	v_bfe_u32 v14, v4, 20, 1
	s_delay_alu instid0(VALU_DEP_1) | instskip(NEXT) | instid1(VALU_DEP_1)
	v_add_co_u32 v14, s0, v4, v14
	v_add_co_u32 v14, s0, v14, -1
; %bb.133:                              ;   in Loop: Header=BB1_128 Depth=2
	s_or_b32 exec_lo, exec_lo, s34
	v_add_nc_u32_e32 v15, 0xffffff81, v17
	v_lshrrev_b32_e32 v17, 23, v4
	s_delay_alu instid0(VALU_DEP_3) | instskip(SKIP_1) | instid1(VALU_DEP_3)
	v_and_b32_e32 v14, 0xfffff, v14
	s_mov_b32 s0, exec_lo
	v_cndmask_b32_e64 v15, v15, 0xffffff82, vcc_lo
	s_delay_alu instid0(VALU_DEP_2) | instskip(SKIP_1) | instid1(VALU_DEP_3)
	v_add_co_u32 v4, vcc_lo, v14, v4
	v_add_co_ci_u32_e32 v5, vcc_lo, 0, v5, vcc_lo
	v_add3_u32 v15, v18, v15, v17
                                        ; implicit-def: $vgpr14
	s_delay_alu instid0(VALU_DEP_1) | instskip(NEXT) | instid1(VALU_DEP_1)
	v_add_nc_u32_e32 v17, 7, v15
	v_cmpx_ne_u32_e32 0, v17
	s_xor_b32 s0, exec_lo, s0
; %bb.134:                              ;   in Loop: Header=BB1_128 Depth=2
	v_cmp_lt_u64_e32 vcc_lo, 0xffffff, v[4:5]
	v_add_nc_u32_e32 v14, 8, v15
	v_cndmask_b32_e64 v15, 0, 1, vcc_lo
	s_delay_alu instid0(VALU_DEP_2) | instskip(NEXT) | instid1(VALU_DEP_2)
	v_cndmask_b32_e32 v14, v17, v14, vcc_lo
	v_lshrrev_b64 v[4:5], v15, v[4:5]
; %bb.135:                              ;   in Loop: Header=BB1_128 Depth=2
	s_and_not1_saveexec_b32 s0, s0
	s_cbranch_execz .LBB1_124
; %bb.136:                              ;   in Loop: Header=BB1_128 Depth=2
	s_delay_alu instid0(VALU_DEP_1)
	v_bfe_u32 v14, v4, 23, 1
	s_branch .LBB1_124
.LBB1_137:                              ;   in Loop: Header=BB1_7 Depth=1
	s_or_b32 exec_lo, exec_lo, s25
                                        ; implicit-def: $vgpr12_vgpr13
                                        ; implicit-def: $vgpr29
                                        ; implicit-def: $vgpr30
.LBB1_138:                              ;   in Loop: Header=BB1_7 Depth=1
	s_and_not1_saveexec_b32 s17, s17
	s_cbranch_execz .LBB1_238
; %bb.139:                              ;   in Loop: Header=BB1_7 Depth=1
	s_and_not1_b32 vcc_lo, exec_lo, s5
	s_cbranch_vccnz .LBB1_238
; %bb.140:                              ;   in Loop: Header=BB1_7 Depth=1
	v_add_co_u32 v1, vcc_lo, v27, v29
	v_add_co_ci_u32_e32 v2, vcc_lo, v28, v30, vcc_lo
	s_mov_b32 s25, s12
	s_delay_alu instid0(VALU_DEP_2) | instskip(NEXT) | instid1(VALU_DEP_2)
	v_add_co_u32 v14, vcc_lo, s2, v1
	v_add_co_ci_u32_e32 v15, vcc_lo, s3, v2, vcc_lo
	s_branch .LBB1_145
.LBB1_141:                              ;   in Loop: Header=BB1_145 Depth=2
	s_or_b32 exec_lo, exec_lo, s0
	s_delay_alu instid0(VALU_DEP_1) | instskip(NEXT) | instid1(VALU_DEP_2)
	v_lshrrev_b64 v[3:4], 20, v[3:4]
	v_cmp_gt_i32_e32 vcc_lo, 16, v5
	v_and_b32_e32 v21, 0x80, v23
	v_min_i32_e32 v22, 15, v5
	v_cmp_eq_u32_e64 s0, 0, v5
	v_dual_cndmask_b32 v4, 0, v4 :: v_dual_cndmask_b32 v3, 7, v3
	s_delay_alu instid0(VALU_DEP_3) | instskip(NEXT) | instid1(VALU_DEP_2)
	v_lshl_or_b32 v21, v22, 3, v21
	v_cmp_eq_u64_e32 vcc_lo, 0, v[3:4]
	s_delay_alu instid0(VALU_DEP_2)
	v_and_or_b32 v3, v3, 7, v21
	s_and_b32 s0, s0, vcc_lo
	s_delay_alu instid0(VALU_DEP_1) | instid1(SALU_CYCLE_1)
	v_cndmask_b32_e64 v3, v3, 0, s0
.LBB1_142:                              ;   in Loop: Header=BB1_145 Depth=2
	s_or_b32 exec_lo, exec_lo, s31
.LBB1_143:                              ;   in Loop: Header=BB1_145 Depth=2
	s_and_not1_saveexec_b32 s0, s30
	s_delay_alu instid0(SALU_CYCLE_1)
	s_or_b32 exec_lo, exec_lo, s0
.LBB1_144:                              ;   in Loop: Header=BB1_145 Depth=2
	s_and_not1_saveexec_b32 s0, s29
	s_delay_alu instid0(SALU_CYCLE_1)
	s_or_b32 exec_lo, exec_lo, s0
	v_lshlrev_b32_e32 v4, 16, v20
	v_lshlrev_b32_e32 v5, 16, v18
	;; [unrolled: 1-line block ×5, first 2 shown]
	v_and_b32_e32 v4, 0xff0000, v4
	v_perm_b32 v1, v1, v5, 0x4020c0c
	v_and_b32_e32 v5, 0xff, v19
	v_and_b32_e32 v16, 0xff, v16
	;; [unrolled: 1-line block ×3, first 2 shown]
	v_or_b32_e32 v3, v3, v4
	v_and_or_b32 v1, 0xff00, v17, v1
	s_add_i32 s25, s25, -1
	s_delay_alu instid0(SALU_CYCLE_1) | instskip(NEXT) | instid1(VALU_DEP_2)
	s_cmp_eq_u32 s25, 0
	v_or3_b32 v2, v3, v2, v5
	s_delay_alu instid0(VALU_DEP_2)
	v_or_b32_e32 v1, v1, v16
	global_store_b64 v[14:15], v[1:2], off
	v_add_co_u32 v14, vcc_lo, v14, 8
	v_add_co_ci_u32_e32 v15, vcc_lo, 0, v15, vcc_lo
	v_add_co_u32 v12, vcc_lo, v12, 16
	v_add_co_ci_u32_e32 v13, vcc_lo, 0, v13, vcc_lo
	s_cbranch_scc1 .LBB1_238
.LBB1_145:                              ;   Parent Loop BB1_7 Depth=1
                                        ; =>  This Inner Loop Header: Depth=2
	global_load_b128 v[1:4], v[12:13], off
	s_mov_b32 s0, exec_lo
	s_waitcnt vmcnt(0)
	v_lshlrev_b32_e32 v5, 16, v1
	s_delay_alu instid0(VALU_DEP_1) | instskip(NEXT) | instid1(VALU_DEP_1)
	v_div_scale_f32 v16, null, s10, s10, v5
	v_rcp_f32_e32 v17, v16
	s_waitcnt_depctr 0xfff
	v_fma_f32 v18, -v16, v17, 1.0
	s_delay_alu instid0(VALU_DEP_1) | instskip(SKIP_1) | instid1(VALU_DEP_1)
	v_fmac_f32_e32 v17, v18, v17
	v_div_scale_f32 v18, vcc_lo, v5, s10, v5
	v_mul_f32_e32 v19, v18, v17
	s_delay_alu instid0(VALU_DEP_1) | instskip(NEXT) | instid1(VALU_DEP_1)
	v_fma_f32 v20, -v16, v19, v18
	v_fmac_f32_e32 v19, v20, v17
	s_delay_alu instid0(VALU_DEP_1) | instskip(NEXT) | instid1(VALU_DEP_1)
	v_fma_f32 v16, -v16, v19, v18
	v_div_fmas_f32 v16, v16, v17, v19
	s_delay_alu instid0(VALU_DEP_1) | instskip(NEXT) | instid1(VALU_DEP_1)
	v_div_fixup_f32 v18, v16, s10, v5
	v_lshrrev_b32_e32 v20, 24, v18
	v_and_b32_e32 v5, 0x7f800000, v18
	s_delay_alu instid0(VALU_DEP_2) | instskip(NEXT) | instid1(VALU_DEP_2)
	v_or_b32_e32 v16, 0x7f, v20
	v_cmpx_ne_u64_e32 0x7f800000, v[5:6]
	s_xor_b32 s29, exec_lo, s0
	s_cbranch_execz .LBB1_157
; %bb.146:                              ;   in Loop: Header=BB1_145 Depth=2
	v_and_b32_e32 v5, 0x7fffffff, v18
	s_mov_b32 s0, exec_lo
	s_delay_alu instid0(VALU_DEP_1)
	v_cmpx_gt_u64_e32 0x43700001, v[5:6]
	s_xor_b32 s30, exec_lo, s0
	s_cbranch_execz .LBB1_156
; %bb.147:                              ;   in Loop: Header=BB1_145 Depth=2
	s_mov_b32 s31, exec_lo
	v_mov_b32_e32 v16, 0
	v_mov_b32_e32 v17, 0
	v_cmpx_ne_u32_e32 0, v18
	s_cbranch_execz .LBB1_155
; %bb.148:                              ;   in Loop: Header=BB1_145 Depth=2
	v_bfe_u32 v21, v18, 23, 8
	s_delay_alu instid0(VALU_DEP_1) | instskip(SKIP_1) | instid1(VALU_DEP_2)
	v_sub_nc_u32_e32 v5, 0x78, v21
	v_cmp_gt_u32_e32 vcc_lo, 0x79, v21
	v_cndmask_b32_e32 v5, 0, v5, vcc_lo
	v_cmp_eq_u32_e32 vcc_lo, 0, v21
	s_delay_alu instid0(VALU_DEP_2) | instskip(SKIP_1) | instid1(VALU_DEP_2)
	v_cndmask_b32_e64 v22, v5, 0x77, vcc_lo
	v_and_b32_e32 v5, 0x7fffff, v18
	v_add_nc_u32_e32 v16, 20, v22
	s_delay_alu instid0(VALU_DEP_2) | instskip(NEXT) | instid1(VALU_DEP_2)
	v_or_b32_e32 v18, 0x800000, v5
	v_lshlrev_b64 v[16:17], v16, -1
	s_delay_alu instid0(VALU_DEP_2) | instskip(SKIP_1) | instid1(VALU_DEP_3)
	v_cndmask_b32_e32 v5, v18, v5, vcc_lo
	v_add_nc_u32_e32 v17, 19, v22
	v_not_b32_e32 v16, v16
	v_mov_b32_e32 v19, v6
	s_delay_alu instid0(VALU_DEP_3) | instskip(NEXT) | instid1(VALU_DEP_3)
	v_lshlrev_b64 v[23:24], v17, 1
	v_and_b32_e32 v18, v5, v16
	v_lshrrev_b64 v[16:17], v22, v[5:6]
	s_delay_alu instid0(VALU_DEP_2) | instskip(NEXT) | instid1(VALU_DEP_2)
	v_cmp_eq_u64_e64 s0, v[18:19], v[23:24]
	v_dual_mov_b32 v19, v17 :: v_dual_mov_b32 v18, v16
	s_delay_alu instid0(VALU_DEP_2)
	s_and_saveexec_b32 s33, s0
; %bb.149:                              ;   in Loop: Header=BB1_145 Depth=2
	v_bfe_u32 v5, v16, 20, 1
	s_delay_alu instid0(VALU_DEP_1) | instskip(NEXT) | instid1(VALU_DEP_1)
	v_add_co_u32 v5, s0, v16, v5
	v_add_co_u32 v18, s0, v5, -1
; %bb.150:                              ;   in Loop: Header=BB1_145 Depth=2
	s_or_b32 exec_lo, exec_lo, s33
	v_add_nc_u32_e32 v5, 0xffffff81, v21
	v_lshrrev_b32_e32 v19, 23, v16
	s_mov_b32 s0, exec_lo
	s_delay_alu instid0(VALU_DEP_2) | instskip(NEXT) | instid1(VALU_DEP_1)
	v_cndmask_b32_e64 v5, v5, 0xffffff82, vcc_lo
	v_add3_u32 v19, v22, v5, v19
	v_and_b32_e32 v5, 0xfffff, v18
	s_delay_alu instid0(VALU_DEP_2) | instskip(NEXT) | instid1(VALU_DEP_2)
	v_add_nc_u32_e32 v18, 7, v19
	v_add_co_u32 v16, vcc_lo, v5, v16
	v_add_co_ci_u32_e32 v17, vcc_lo, 0, v17, vcc_lo
                                        ; implicit-def: $vgpr5
	s_delay_alu instid0(VALU_DEP_3)
	v_cmpx_ne_u32_e32 0, v18
	s_xor_b32 s0, exec_lo, s0
; %bb.151:                              ;   in Loop: Header=BB1_145 Depth=2
	s_delay_alu instid0(VALU_DEP_2) | instskip(SKIP_1) | instid1(VALU_DEP_1)
	v_cmp_lt_u64_e32 vcc_lo, 0xffffff, v[16:17]
	v_add_nc_u32_e32 v5, 8, v19
	v_cndmask_b32_e32 v5, v18, v5, vcc_lo
	v_cndmask_b32_e64 v18, 0, 1, vcc_lo
	s_delay_alu instid0(VALU_DEP_1)
	v_lshrrev_b64 v[16:17], v18, v[16:17]
; %bb.152:                              ;   in Loop: Header=BB1_145 Depth=2
	s_and_not1_saveexec_b32 s0, s0
; %bb.153:                              ;   in Loop: Header=BB1_145 Depth=2
	s_delay_alu instid0(VALU_DEP_1)
	v_bfe_u32 v5, v16, 23, 1
; %bb.154:                              ;   in Loop: Header=BB1_145 Depth=2
	s_or_b32 exec_lo, exec_lo, s0
	s_delay_alu instid0(VALU_DEP_2) | instskip(NEXT) | instid1(VALU_DEP_2)
	v_lshrrev_b64 v[16:17], 20, v[16:17]
	v_cmp_gt_i32_e32 vcc_lo, 16, v5
	v_and_b32_e32 v18, 0x80, v20
	v_min_i32_e32 v19, 15, v5
	v_cmp_eq_u32_e64 s0, 0, v5
	v_dual_cndmask_b32 v17, 0, v17 :: v_dual_cndmask_b32 v16, 7, v16
	s_delay_alu instid0(VALU_DEP_3) | instskip(NEXT) | instid1(VALU_DEP_2)
	v_lshl_or_b32 v18, v19, 3, v18
	v_cmp_eq_u64_e32 vcc_lo, 0, v[16:17]
	s_delay_alu instid0(VALU_DEP_2)
	v_and_or_b32 v5, v16, 7, v18
	s_and_b32 s0, s0, vcc_lo
	s_delay_alu instid0(VALU_DEP_1) | instid1(SALU_CYCLE_1)
	v_cndmask_b32_e64 v16, v5, 0, s0
.LBB1_155:                              ;   in Loop: Header=BB1_145 Depth=2
	s_or_b32 exec_lo, exec_lo, s31
.LBB1_156:                              ;   in Loop: Header=BB1_145 Depth=2
	s_and_not1_saveexec_b32 s0, s30
	s_delay_alu instid0(SALU_CYCLE_1)
	s_or_b32 exec_lo, exec_lo, s0
.LBB1_157:                              ;   in Loop: Header=BB1_145 Depth=2
	s_and_not1_saveexec_b32 s0, s29
	s_delay_alu instid0(SALU_CYCLE_1) | instskip(SKIP_2) | instid1(VALU_DEP_1)
	s_or_b32 exec_lo, exec_lo, s0
	v_and_b32_e32 v1, 0xffff0000, v1
	s_mov_b32 s0, exec_lo
	v_div_scale_f32 v5, null, s10, s10, v1
	s_delay_alu instid0(VALU_DEP_1) | instskip(SKIP_2) | instid1(VALU_DEP_1)
	v_rcp_f32_e32 v17, v5
	s_waitcnt_depctr 0xfff
	v_fma_f32 v18, -v5, v17, 1.0
	v_fmac_f32_e32 v17, v18, v17
	v_div_scale_f32 v18, vcc_lo, v1, s10, v1
	s_delay_alu instid0(VALU_DEP_1) | instskip(NEXT) | instid1(VALU_DEP_1)
	v_mul_f32_e32 v19, v18, v17
	v_fma_f32 v20, -v5, v19, v18
	s_delay_alu instid0(VALU_DEP_1) | instskip(NEXT) | instid1(VALU_DEP_1)
	v_fmac_f32_e32 v19, v20, v17
	v_fma_f32 v5, -v5, v19, v18
	s_delay_alu instid0(VALU_DEP_1) | instskip(NEXT) | instid1(VALU_DEP_1)
	v_div_fmas_f32 v5, v5, v17, v19
	v_div_fixup_f32 v19, v5, s10, v1
	s_delay_alu instid0(VALU_DEP_1) | instskip(SKIP_1) | instid1(VALU_DEP_2)
	v_lshrrev_b32_e32 v1, 24, v19
	v_and_b32_e32 v5, 0x7f800000, v19
	v_or_b32_e32 v17, 0x7f, v1
	s_delay_alu instid0(VALU_DEP_2)
	v_cmpx_ne_u64_e32 0x7f800000, v[5:6]
	s_xor_b32 s29, exec_lo, s0
	s_cbranch_execz .LBB1_169
; %bb.158:                              ;   in Loop: Header=BB1_145 Depth=2
	v_and_b32_e32 v5, 0x7fffffff, v19
	s_mov_b32 s0, exec_lo
	s_delay_alu instid0(VALU_DEP_1)
	v_cmpx_gt_u64_e32 0x43700001, v[5:6]
	s_xor_b32 s30, exec_lo, s0
	s_cbranch_execz .LBB1_168
; %bb.159:                              ;   in Loop: Header=BB1_145 Depth=2
	s_mov_b32 s31, exec_lo
	v_mov_b32_e32 v17, 0
	v_mov_b32_e32 v18, 0
	v_cmpx_ne_u32_e32 0, v19
	s_cbranch_execz .LBB1_167
; %bb.160:                              ;   in Loop: Header=BB1_145 Depth=2
	v_bfe_u32 v21, v19, 23, 8
	v_mov_b32_e32 v20, v6
	s_delay_alu instid0(VALU_DEP_2) | instskip(SKIP_1) | instid1(VALU_DEP_2)
	v_sub_nc_u32_e32 v5, 0x78, v21
	v_cmp_gt_u32_e32 vcc_lo, 0x79, v21
	v_cndmask_b32_e32 v5, 0, v5, vcc_lo
	v_cmp_eq_u32_e32 vcc_lo, 0, v21
	s_delay_alu instid0(VALU_DEP_2) | instskip(SKIP_1) | instid1(VALU_DEP_2)
	v_cndmask_b32_e64 v22, v5, 0x77, vcc_lo
	v_and_b32_e32 v5, 0x7fffff, v19
	v_add_nc_u32_e32 v17, 20, v22
	s_delay_alu instid0(VALU_DEP_2) | instskip(NEXT) | instid1(VALU_DEP_2)
	v_or_b32_e32 v19, 0x800000, v5
	v_lshlrev_b64 v[17:18], v17, -1
	s_delay_alu instid0(VALU_DEP_2) | instskip(NEXT) | instid1(VALU_DEP_2)
	v_dual_cndmask_b32 v5, v19, v5 :: v_dual_add_nc_u32 v18, 19, v22
	v_not_b32_e32 v17, v17
	s_delay_alu instid0(VALU_DEP_2) | instskip(NEXT) | instid1(VALU_DEP_2)
	v_lshlrev_b64 v[23:24], v18, 1
	v_and_b32_e32 v19, v5, v17
	v_lshrrev_b64 v[17:18], v22, v[5:6]
	s_delay_alu instid0(VALU_DEP_2) | instskip(NEXT) | instid1(VALU_DEP_2)
	v_cmp_eq_u64_e64 s0, v[19:20], v[23:24]
	v_dual_mov_b32 v20, v18 :: v_dual_mov_b32 v19, v17
	s_delay_alu instid0(VALU_DEP_2)
	s_and_saveexec_b32 s33, s0
; %bb.161:                              ;   in Loop: Header=BB1_145 Depth=2
	v_bfe_u32 v5, v17, 20, 1
	s_delay_alu instid0(VALU_DEP_1) | instskip(NEXT) | instid1(VALU_DEP_1)
	v_add_co_u32 v5, s0, v17, v5
	v_add_co_u32 v19, s0, v5, -1
; %bb.162:                              ;   in Loop: Header=BB1_145 Depth=2
	s_or_b32 exec_lo, exec_lo, s33
	v_add_nc_u32_e32 v5, 0xffffff81, v21
	v_lshrrev_b32_e32 v20, 23, v17
	s_mov_b32 s0, exec_lo
	s_delay_alu instid0(VALU_DEP_2) | instskip(NEXT) | instid1(VALU_DEP_1)
	v_cndmask_b32_e64 v5, v5, 0xffffff82, vcc_lo
	v_add3_u32 v20, v22, v5, v20
	v_and_b32_e32 v5, 0xfffff, v19
	s_delay_alu instid0(VALU_DEP_2) | instskip(NEXT) | instid1(VALU_DEP_2)
	v_add_nc_u32_e32 v19, 7, v20
	v_add_co_u32 v17, vcc_lo, v5, v17
	v_add_co_ci_u32_e32 v18, vcc_lo, 0, v18, vcc_lo
                                        ; implicit-def: $vgpr5
	s_delay_alu instid0(VALU_DEP_3)
	v_cmpx_ne_u32_e32 0, v19
	s_xor_b32 s0, exec_lo, s0
; %bb.163:                              ;   in Loop: Header=BB1_145 Depth=2
	s_delay_alu instid0(VALU_DEP_2) | instskip(SKIP_1) | instid1(VALU_DEP_1)
	v_cmp_lt_u64_e32 vcc_lo, 0xffffff, v[17:18]
	v_add_nc_u32_e32 v5, 8, v20
	v_cndmask_b32_e32 v5, v19, v5, vcc_lo
	v_cndmask_b32_e64 v19, 0, 1, vcc_lo
	s_delay_alu instid0(VALU_DEP_1)
	v_lshrrev_b64 v[17:18], v19, v[17:18]
; %bb.164:                              ;   in Loop: Header=BB1_145 Depth=2
	s_and_not1_saveexec_b32 s0, s0
; %bb.165:                              ;   in Loop: Header=BB1_145 Depth=2
	s_delay_alu instid0(VALU_DEP_1)
	v_bfe_u32 v5, v17, 23, 1
; %bb.166:                              ;   in Loop: Header=BB1_145 Depth=2
	s_or_b32 exec_lo, exec_lo, s0
	s_delay_alu instid0(VALU_DEP_2) | instskip(NEXT) | instid1(VALU_DEP_2)
	v_lshrrev_b64 v[17:18], 20, v[17:18]
	v_cmp_gt_i32_e32 vcc_lo, 16, v5
	v_and_b32_e32 v1, 0x80, v1
	v_min_i32_e32 v19, 15, v5
	v_cmp_eq_u32_e64 s0, 0, v5
	v_dual_cndmask_b32 v18, 0, v18 :: v_dual_cndmask_b32 v17, 7, v17
	s_delay_alu instid0(VALU_DEP_3) | instskip(NEXT) | instid1(VALU_DEP_2)
	v_lshl_or_b32 v1, v19, 3, v1
	v_cmp_eq_u64_e32 vcc_lo, 0, v[17:18]
	s_delay_alu instid0(VALU_DEP_2)
	v_and_or_b32 v1, v17, 7, v1
	s_and_b32 s0, s0, vcc_lo
	s_delay_alu instid0(VALU_DEP_1) | instid1(SALU_CYCLE_1)
	v_cndmask_b32_e64 v17, v1, 0, s0
.LBB1_167:                              ;   in Loop: Header=BB1_145 Depth=2
	s_or_b32 exec_lo, exec_lo, s31
.LBB1_168:                              ;   in Loop: Header=BB1_145 Depth=2
	s_and_not1_saveexec_b32 s0, s30
	s_delay_alu instid0(SALU_CYCLE_1)
	s_or_b32 exec_lo, exec_lo, s0
.LBB1_169:                              ;   in Loop: Header=BB1_145 Depth=2
	s_and_not1_saveexec_b32 s0, s29
	s_delay_alu instid0(SALU_CYCLE_1) | instskip(SKIP_2) | instid1(VALU_DEP_1)
	s_or_b32 exec_lo, exec_lo, s0
	v_lshlrev_b32_e32 v1, 16, v2
	s_mov_b32 s0, exec_lo
	v_div_scale_f32 v5, null, s10, s10, v1
	s_delay_alu instid0(VALU_DEP_1) | instskip(SKIP_2) | instid1(VALU_DEP_1)
	v_rcp_f32_e32 v18, v5
	s_waitcnt_depctr 0xfff
	v_fma_f32 v19, -v5, v18, 1.0
	v_fmac_f32_e32 v18, v19, v18
	v_div_scale_f32 v19, vcc_lo, v1, s10, v1
	s_delay_alu instid0(VALU_DEP_1) | instskip(NEXT) | instid1(VALU_DEP_1)
	v_mul_f32_e32 v20, v19, v18
	v_fma_f32 v21, -v5, v20, v19
	s_delay_alu instid0(VALU_DEP_1) | instskip(NEXT) | instid1(VALU_DEP_1)
	v_fmac_f32_e32 v20, v21, v18
	v_fma_f32 v5, -v5, v20, v19
	s_delay_alu instid0(VALU_DEP_1) | instskip(NEXT) | instid1(VALU_DEP_1)
	v_div_fmas_f32 v5, v5, v18, v20
	v_div_fixup_f32 v20, v5, s10, v1
	s_delay_alu instid0(VALU_DEP_1) | instskip(SKIP_1) | instid1(VALU_DEP_1)
	v_and_b32_e32 v5, 0x7f800000, v20
	v_lshrrev_b32_e32 v1, 24, v20
	v_or_b32_e32 v18, 0x7f, v1
	s_delay_alu instid0(VALU_DEP_3)
	v_cmpx_ne_u64_e32 0x7f800000, v[5:6]
	s_xor_b32 s29, exec_lo, s0
	s_cbranch_execz .LBB1_181
; %bb.170:                              ;   in Loop: Header=BB1_145 Depth=2
	v_and_b32_e32 v5, 0x7fffffff, v20
	s_mov_b32 s0, exec_lo
	s_delay_alu instid0(VALU_DEP_1)
	v_cmpx_gt_u64_e32 0x43700001, v[5:6]
	s_xor_b32 s30, exec_lo, s0
	s_cbranch_execz .LBB1_180
; %bb.171:                              ;   in Loop: Header=BB1_145 Depth=2
	s_mov_b32 s31, exec_lo
	v_mov_b32_e32 v18, 0
	v_mov_b32_e32 v19, 0
	v_cmpx_ne_u32_e32 0, v20
	s_cbranch_execz .LBB1_179
; %bb.172:                              ;   in Loop: Header=BB1_145 Depth=2
	v_bfe_u32 v22, v20, 23, 8
	s_delay_alu instid0(VALU_DEP_1) | instskip(SKIP_1) | instid1(VALU_DEP_2)
	v_sub_nc_u32_e32 v5, 0x78, v22
	v_cmp_gt_u32_e32 vcc_lo, 0x79, v22
	v_cndmask_b32_e32 v5, 0, v5, vcc_lo
	v_cmp_eq_u32_e32 vcc_lo, 0, v22
	s_delay_alu instid0(VALU_DEP_2) | instskip(SKIP_1) | instid1(VALU_DEP_2)
	v_cndmask_b32_e64 v23, v5, 0x77, vcc_lo
	v_and_b32_e32 v5, 0x7fffff, v20
	v_add_nc_u32_e32 v18, 20, v23
	s_delay_alu instid0(VALU_DEP_2) | instskip(NEXT) | instid1(VALU_DEP_2)
	v_or_b32_e32 v20, 0x800000, v5
	v_lshlrev_b64 v[18:19], v18, -1
	s_delay_alu instid0(VALU_DEP_2) | instskip(SKIP_1) | instid1(VALU_DEP_3)
	v_cndmask_b32_e32 v5, v20, v5, vcc_lo
	v_add_nc_u32_e32 v19, 19, v23
	v_not_b32_e32 v18, v18
	v_mov_b32_e32 v21, v6
	s_delay_alu instid0(VALU_DEP_3) | instskip(NEXT) | instid1(VALU_DEP_3)
	v_lshlrev_b64 v[24:25], v19, 1
	v_and_b32_e32 v20, v5, v18
	v_lshrrev_b64 v[18:19], v23, v[5:6]
	s_delay_alu instid0(VALU_DEP_2) | instskip(NEXT) | instid1(VALU_DEP_2)
	v_cmp_eq_u64_e64 s0, v[20:21], v[24:25]
	v_dual_mov_b32 v21, v19 :: v_dual_mov_b32 v20, v18
	s_delay_alu instid0(VALU_DEP_2)
	s_and_saveexec_b32 s33, s0
; %bb.173:                              ;   in Loop: Header=BB1_145 Depth=2
	v_bfe_u32 v5, v18, 20, 1
	s_delay_alu instid0(VALU_DEP_1) | instskip(NEXT) | instid1(VALU_DEP_1)
	v_add_co_u32 v5, s0, v18, v5
	v_add_co_u32 v20, s0, v5, -1
; %bb.174:                              ;   in Loop: Header=BB1_145 Depth=2
	s_or_b32 exec_lo, exec_lo, s33
	v_add_nc_u32_e32 v5, 0xffffff81, v22
	v_lshrrev_b32_e32 v21, 23, v18
	s_mov_b32 s0, exec_lo
	s_delay_alu instid0(VALU_DEP_2) | instskip(NEXT) | instid1(VALU_DEP_1)
	v_cndmask_b32_e64 v5, v5, 0xffffff82, vcc_lo
	v_add3_u32 v21, v23, v5, v21
	v_and_b32_e32 v5, 0xfffff, v20
	s_delay_alu instid0(VALU_DEP_2) | instskip(NEXT) | instid1(VALU_DEP_2)
	v_add_nc_u32_e32 v20, 7, v21
	v_add_co_u32 v18, vcc_lo, v5, v18
	v_add_co_ci_u32_e32 v19, vcc_lo, 0, v19, vcc_lo
                                        ; implicit-def: $vgpr5
	s_delay_alu instid0(VALU_DEP_3)
	v_cmpx_ne_u32_e32 0, v20
	s_xor_b32 s0, exec_lo, s0
; %bb.175:                              ;   in Loop: Header=BB1_145 Depth=2
	s_delay_alu instid0(VALU_DEP_2) | instskip(SKIP_1) | instid1(VALU_DEP_1)
	v_cmp_lt_u64_e32 vcc_lo, 0xffffff, v[18:19]
	v_add_nc_u32_e32 v5, 8, v21
	v_cndmask_b32_e32 v5, v20, v5, vcc_lo
	v_cndmask_b32_e64 v20, 0, 1, vcc_lo
	s_delay_alu instid0(VALU_DEP_1)
	v_lshrrev_b64 v[18:19], v20, v[18:19]
; %bb.176:                              ;   in Loop: Header=BB1_145 Depth=2
	s_and_not1_saveexec_b32 s0, s0
; %bb.177:                              ;   in Loop: Header=BB1_145 Depth=2
	s_delay_alu instid0(VALU_DEP_1)
	v_bfe_u32 v5, v18, 23, 1
; %bb.178:                              ;   in Loop: Header=BB1_145 Depth=2
	s_or_b32 exec_lo, exec_lo, s0
	s_delay_alu instid0(VALU_DEP_2) | instskip(NEXT) | instid1(VALU_DEP_2)
	v_lshrrev_b64 v[18:19], 20, v[18:19]
	v_cmp_gt_i32_e32 vcc_lo, 16, v5
	v_and_b32_e32 v1, 0x80, v1
	v_min_i32_e32 v20, 15, v5
	v_cmp_eq_u32_e64 s0, 0, v5
	v_dual_cndmask_b32 v18, 7, v18 :: v_dual_cndmask_b32 v19, 0, v19
	s_delay_alu instid0(VALU_DEP_3) | instskip(NEXT) | instid1(VALU_DEP_2)
	v_lshl_or_b32 v1, v20, 3, v1
	v_cmp_eq_u64_e32 vcc_lo, 0, v[18:19]
	s_delay_alu instid0(VALU_DEP_2)
	v_and_or_b32 v1, v18, 7, v1
	s_and_b32 s0, s0, vcc_lo
	s_delay_alu instid0(VALU_DEP_1) | instid1(SALU_CYCLE_1)
	v_cndmask_b32_e64 v18, v1, 0, s0
.LBB1_179:                              ;   in Loop: Header=BB1_145 Depth=2
	s_or_b32 exec_lo, exec_lo, s31
.LBB1_180:                              ;   in Loop: Header=BB1_145 Depth=2
	s_and_not1_saveexec_b32 s0, s30
	s_delay_alu instid0(SALU_CYCLE_1)
	s_or_b32 exec_lo, exec_lo, s0
.LBB1_181:                              ;   in Loop: Header=BB1_145 Depth=2
	s_and_not1_saveexec_b32 s0, s29
	s_delay_alu instid0(SALU_CYCLE_1) | instskip(SKIP_2) | instid1(VALU_DEP_1)
	s_or_b32 exec_lo, exec_lo, s0
	v_and_b32_e32 v1, 0xffff0000, v2
	s_mov_b32 s0, exec_lo
	v_div_scale_f32 v2, null, s10, s10, v1
	s_delay_alu instid0(VALU_DEP_1) | instskip(SKIP_2) | instid1(VALU_DEP_1)
	v_rcp_f32_e32 v5, v2
	s_waitcnt_depctr 0xfff
	v_fma_f32 v19, -v2, v5, 1.0
	v_fmac_f32_e32 v5, v19, v5
	v_div_scale_f32 v19, vcc_lo, v1, s10, v1
	s_delay_alu instid0(VALU_DEP_1) | instskip(NEXT) | instid1(VALU_DEP_1)
	v_mul_f32_e32 v20, v19, v5
	v_fma_f32 v21, -v2, v20, v19
	s_delay_alu instid0(VALU_DEP_1) | instskip(NEXT) | instid1(VALU_DEP_1)
	v_fmac_f32_e32 v20, v21, v5
	v_fma_f32 v2, -v2, v20, v19
	s_delay_alu instid0(VALU_DEP_1) | instskip(NEXT) | instid1(VALU_DEP_1)
	v_div_fmas_f32 v2, v2, v5, v20
	v_div_fixup_f32 v19, v2, s10, v1
	s_delay_alu instid0(VALU_DEP_1) | instskip(SKIP_1) | instid1(VALU_DEP_1)
	v_and_b32_e32 v5, 0x7f800000, v19
	v_lshrrev_b32_e32 v21, 24, v19
	v_or_b32_e32 v1, 0x7f, v21
	s_delay_alu instid0(VALU_DEP_3)
	v_cmpx_ne_u64_e32 0x7f800000, v[5:6]
	s_xor_b32 s29, exec_lo, s0
	s_cbranch_execz .LBB1_193
; %bb.182:                              ;   in Loop: Header=BB1_145 Depth=2
	v_and_b32_e32 v5, 0x7fffffff, v19
	s_mov_b32 s0, exec_lo
	s_delay_alu instid0(VALU_DEP_1)
	v_cmpx_gt_u64_e32 0x43700001, v[5:6]
	s_xor_b32 s30, exec_lo, s0
	s_cbranch_execz .LBB1_192
; %bb.183:                              ;   in Loop: Header=BB1_145 Depth=2
	s_mov_b32 s31, exec_lo
	v_mov_b32_e32 v1, 0
	v_mov_b32_e32 v2, 0
	v_cmpx_ne_u32_e32 0, v19
	s_cbranch_execz .LBB1_191
; %bb.184:                              ;   in Loop: Header=BB1_145 Depth=2
	v_bfe_u32 v22, v19, 23, 8
	v_dual_mov_b32 v20, v6 :: v_dual_and_b32 v5, 0x7fffff, v19
	s_delay_alu instid0(VALU_DEP_2) | instskip(SKIP_1) | instid1(VALU_DEP_3)
	v_sub_nc_u32_e32 v1, 0x78, v22
	v_cmp_gt_u32_e32 vcc_lo, 0x79, v22
	v_or_b32_e32 v19, 0x800000, v5
	s_delay_alu instid0(VALU_DEP_3) | instskip(SKIP_1) | instid1(VALU_DEP_2)
	v_cndmask_b32_e32 v1, 0, v1, vcc_lo
	v_cmp_eq_u32_e32 vcc_lo, 0, v22
	v_cndmask_b32_e64 v23, v1, 0x77, vcc_lo
	s_delay_alu instid0(VALU_DEP_4) | instskip(NEXT) | instid1(VALU_DEP_2)
	v_cndmask_b32_e32 v5, v19, v5, vcc_lo
	v_add_nc_u32_e32 v1, 20, v23
	s_delay_alu instid0(VALU_DEP_1) | instskip(SKIP_1) | instid1(VALU_DEP_2)
	v_lshlrev_b64 v[1:2], v1, -1
	v_add_nc_u32_e32 v2, 19, v23
	v_not_b32_e32 v1, v1
	s_delay_alu instid0(VALU_DEP_2) | instskip(NEXT) | instid1(VALU_DEP_2)
	v_lshlrev_b64 v[24:25], v2, 1
	v_and_b32_e32 v19, v5, v1
	v_lshrrev_b64 v[1:2], v23, v[5:6]
	s_delay_alu instid0(VALU_DEP_2) | instskip(NEXT) | instid1(VALU_DEP_2)
	v_cmp_eq_u64_e64 s0, v[19:20], v[24:25]
	v_dual_mov_b32 v20, v2 :: v_dual_mov_b32 v19, v1
	s_delay_alu instid0(VALU_DEP_2)
	s_and_saveexec_b32 s33, s0
; %bb.185:                              ;   in Loop: Header=BB1_145 Depth=2
	v_bfe_u32 v5, v1, 20, 1
	s_delay_alu instid0(VALU_DEP_1) | instskip(NEXT) | instid1(VALU_DEP_1)
	v_add_co_u32 v5, s0, v1, v5
	v_add_co_u32 v19, s0, v5, -1
; %bb.186:                              ;   in Loop: Header=BB1_145 Depth=2
	s_or_b32 exec_lo, exec_lo, s33
	v_add_nc_u32_e32 v5, 0xffffff81, v22
	v_lshrrev_b32_e32 v20, 23, v1
	s_mov_b32 s0, exec_lo
	s_delay_alu instid0(VALU_DEP_2) | instskip(NEXT) | instid1(VALU_DEP_1)
	v_cndmask_b32_e64 v5, v5, 0xffffff82, vcc_lo
	v_add3_u32 v20, v23, v5, v20
	v_and_b32_e32 v5, 0xfffff, v19
	s_delay_alu instid0(VALU_DEP_2) | instskip(NEXT) | instid1(VALU_DEP_2)
	v_add_nc_u32_e32 v19, 7, v20
	v_add_co_u32 v1, vcc_lo, v5, v1
	v_add_co_ci_u32_e32 v2, vcc_lo, 0, v2, vcc_lo
                                        ; implicit-def: $vgpr5
	s_delay_alu instid0(VALU_DEP_3)
	v_cmpx_ne_u32_e32 0, v19
	s_xor_b32 s0, exec_lo, s0
; %bb.187:                              ;   in Loop: Header=BB1_145 Depth=2
	s_delay_alu instid0(VALU_DEP_2) | instskip(SKIP_1) | instid1(VALU_DEP_1)
	v_cmp_lt_u64_e32 vcc_lo, 0xffffff, v[1:2]
	v_add_nc_u32_e32 v5, 8, v20
	v_cndmask_b32_e32 v5, v19, v5, vcc_lo
	v_cndmask_b32_e64 v19, 0, 1, vcc_lo
	s_delay_alu instid0(VALU_DEP_1)
	v_lshrrev_b64 v[1:2], v19, v[1:2]
; %bb.188:                              ;   in Loop: Header=BB1_145 Depth=2
	s_and_not1_saveexec_b32 s0, s0
; %bb.189:                              ;   in Loop: Header=BB1_145 Depth=2
	s_delay_alu instid0(VALU_DEP_1)
	v_bfe_u32 v5, v1, 23, 1
; %bb.190:                              ;   in Loop: Header=BB1_145 Depth=2
	s_or_b32 exec_lo, exec_lo, s0
	s_delay_alu instid0(VALU_DEP_2) | instskip(NEXT) | instid1(VALU_DEP_2)
	v_lshrrev_b64 v[1:2], 20, v[1:2]
	v_cmp_gt_i32_e32 vcc_lo, 16, v5
	v_and_b32_e32 v19, 0x80, v21
	v_min_i32_e32 v20, 15, v5
	v_cmp_eq_u32_e64 s0, 0, v5
	v_dual_cndmask_b32 v2, 0, v2 :: v_dual_cndmask_b32 v1, 7, v1
	s_delay_alu instid0(VALU_DEP_3) | instskip(NEXT) | instid1(VALU_DEP_2)
	v_lshl_or_b32 v19, v20, 3, v19
	v_cmp_eq_u64_e32 vcc_lo, 0, v[1:2]
	s_delay_alu instid0(VALU_DEP_2)
	v_and_or_b32 v1, v1, 7, v19
	s_and_b32 s0, s0, vcc_lo
	s_delay_alu instid0(VALU_DEP_1) | instid1(SALU_CYCLE_1)
	v_cndmask_b32_e64 v1, v1, 0, s0
.LBB1_191:                              ;   in Loop: Header=BB1_145 Depth=2
	s_or_b32 exec_lo, exec_lo, s31
.LBB1_192:                              ;   in Loop: Header=BB1_145 Depth=2
	s_and_not1_saveexec_b32 s0, s30
	s_delay_alu instid0(SALU_CYCLE_1)
	s_or_b32 exec_lo, exec_lo, s0
.LBB1_193:                              ;   in Loop: Header=BB1_145 Depth=2
	s_and_not1_saveexec_b32 s0, s29
	s_delay_alu instid0(SALU_CYCLE_1) | instskip(SKIP_2) | instid1(VALU_DEP_1)
	s_or_b32 exec_lo, exec_lo, s0
	v_lshlrev_b32_e32 v2, 16, v3
	s_mov_b32 s0, exec_lo
	v_div_scale_f32 v5, null, s10, s10, v2
	s_delay_alu instid0(VALU_DEP_1) | instskip(SKIP_2) | instid1(VALU_DEP_1)
	v_rcp_f32_e32 v19, v5
	s_waitcnt_depctr 0xfff
	v_fma_f32 v20, -v5, v19, 1.0
	v_fmac_f32_e32 v19, v20, v19
	v_div_scale_f32 v20, vcc_lo, v2, s10, v2
	s_delay_alu instid0(VALU_DEP_1) | instskip(NEXT) | instid1(VALU_DEP_1)
	v_mul_f32_e32 v21, v20, v19
	v_fma_f32 v22, -v5, v21, v20
	s_delay_alu instid0(VALU_DEP_1) | instskip(NEXT) | instid1(VALU_DEP_1)
	v_fmac_f32_e32 v21, v22, v19
	v_fma_f32 v5, -v5, v21, v20
	s_delay_alu instid0(VALU_DEP_1) | instskip(NEXT) | instid1(VALU_DEP_1)
	v_div_fmas_f32 v5, v5, v19, v21
	v_div_fixup_f32 v21, v5, s10, v2
	s_delay_alu instid0(VALU_DEP_1) | instskip(SKIP_1) | instid1(VALU_DEP_2)
	v_lshrrev_b32_e32 v2, 24, v21
	v_and_b32_e32 v5, 0x7f800000, v21
	v_or_b32_e32 v19, 0x7f, v2
	s_delay_alu instid0(VALU_DEP_2)
	v_cmpx_ne_u64_e32 0x7f800000, v[5:6]
	s_xor_b32 s29, exec_lo, s0
	s_cbranch_execz .LBB1_205
; %bb.194:                              ;   in Loop: Header=BB1_145 Depth=2
	v_and_b32_e32 v5, 0x7fffffff, v21
	s_mov_b32 s0, exec_lo
	s_delay_alu instid0(VALU_DEP_1)
	v_cmpx_gt_u64_e32 0x43700001, v[5:6]
	s_xor_b32 s30, exec_lo, s0
	s_cbranch_execz .LBB1_204
; %bb.195:                              ;   in Loop: Header=BB1_145 Depth=2
	s_mov_b32 s31, exec_lo
	v_mov_b32_e32 v19, 0
	v_mov_b32_e32 v20, 0
	v_cmpx_ne_u32_e32 0, v21
	s_cbranch_execz .LBB1_203
; %bb.196:                              ;   in Loop: Header=BB1_145 Depth=2
	v_bfe_u32 v23, v21, 23, 8
	v_mov_b32_e32 v22, v6
	s_delay_alu instid0(VALU_DEP_2) | instskip(SKIP_1) | instid1(VALU_DEP_2)
	v_sub_nc_u32_e32 v5, 0x78, v23
	v_cmp_gt_u32_e32 vcc_lo, 0x79, v23
	v_cndmask_b32_e32 v5, 0, v5, vcc_lo
	v_cmp_eq_u32_e32 vcc_lo, 0, v23
	s_delay_alu instid0(VALU_DEP_2) | instskip(SKIP_1) | instid1(VALU_DEP_2)
	v_cndmask_b32_e64 v24, v5, 0x77, vcc_lo
	v_and_b32_e32 v5, 0x7fffff, v21
	v_add_nc_u32_e32 v19, 20, v24
	s_delay_alu instid0(VALU_DEP_2) | instskip(NEXT) | instid1(VALU_DEP_2)
	v_or_b32_e32 v21, 0x800000, v5
	v_lshlrev_b64 v[19:20], v19, -1
	s_delay_alu instid0(VALU_DEP_2) | instskip(NEXT) | instid1(VALU_DEP_2)
	v_dual_cndmask_b32 v5, v21, v5 :: v_dual_add_nc_u32 v20, 19, v24
	v_not_b32_e32 v19, v19
	s_delay_alu instid0(VALU_DEP_2) | instskip(NEXT) | instid1(VALU_DEP_2)
	v_lshlrev_b64 v[29:30], v20, 1
	v_and_b32_e32 v21, v5, v19
	v_lshrrev_b64 v[19:20], v24, v[5:6]
	s_delay_alu instid0(VALU_DEP_2) | instskip(NEXT) | instid1(VALU_DEP_2)
	v_cmp_eq_u64_e64 s0, v[21:22], v[29:30]
	v_dual_mov_b32 v22, v20 :: v_dual_mov_b32 v21, v19
	s_delay_alu instid0(VALU_DEP_2)
	s_and_saveexec_b32 s33, s0
; %bb.197:                              ;   in Loop: Header=BB1_145 Depth=2
	v_bfe_u32 v5, v19, 20, 1
	s_delay_alu instid0(VALU_DEP_1) | instskip(NEXT) | instid1(VALU_DEP_1)
	v_add_co_u32 v5, s0, v19, v5
	v_add_co_u32 v21, s0, v5, -1
; %bb.198:                              ;   in Loop: Header=BB1_145 Depth=2
	s_or_b32 exec_lo, exec_lo, s33
	v_add_nc_u32_e32 v5, 0xffffff81, v23
	v_lshrrev_b32_e32 v22, 23, v19
	s_mov_b32 s0, exec_lo
	s_delay_alu instid0(VALU_DEP_2) | instskip(NEXT) | instid1(VALU_DEP_1)
	v_cndmask_b32_e64 v5, v5, 0xffffff82, vcc_lo
	v_add3_u32 v22, v24, v5, v22
	v_and_b32_e32 v5, 0xfffff, v21
	s_delay_alu instid0(VALU_DEP_2) | instskip(NEXT) | instid1(VALU_DEP_2)
	v_add_nc_u32_e32 v21, 7, v22
	v_add_co_u32 v19, vcc_lo, v5, v19
	v_add_co_ci_u32_e32 v20, vcc_lo, 0, v20, vcc_lo
                                        ; implicit-def: $vgpr5
	s_delay_alu instid0(VALU_DEP_3)
	v_cmpx_ne_u32_e32 0, v21
	s_xor_b32 s0, exec_lo, s0
; %bb.199:                              ;   in Loop: Header=BB1_145 Depth=2
	s_delay_alu instid0(VALU_DEP_2) | instskip(SKIP_1) | instid1(VALU_DEP_1)
	v_cmp_lt_u64_e32 vcc_lo, 0xffffff, v[19:20]
	v_add_nc_u32_e32 v5, 8, v22
	v_cndmask_b32_e32 v5, v21, v5, vcc_lo
	v_cndmask_b32_e64 v21, 0, 1, vcc_lo
	s_delay_alu instid0(VALU_DEP_1)
	v_lshrrev_b64 v[19:20], v21, v[19:20]
; %bb.200:                              ;   in Loop: Header=BB1_145 Depth=2
	s_and_not1_saveexec_b32 s0, s0
; %bb.201:                              ;   in Loop: Header=BB1_145 Depth=2
	s_delay_alu instid0(VALU_DEP_1)
	v_bfe_u32 v5, v19, 23, 1
; %bb.202:                              ;   in Loop: Header=BB1_145 Depth=2
	s_or_b32 exec_lo, exec_lo, s0
	s_delay_alu instid0(VALU_DEP_2) | instskip(NEXT) | instid1(VALU_DEP_2)
	v_lshrrev_b64 v[19:20], 20, v[19:20]
	v_cmp_gt_i32_e32 vcc_lo, 16, v5
	v_and_b32_e32 v2, 0x80, v2
	v_min_i32_e32 v21, 15, v5
	v_cmp_eq_u32_e64 s0, 0, v5
	v_dual_cndmask_b32 v19, 7, v19 :: v_dual_cndmask_b32 v20, 0, v20
	s_delay_alu instid0(VALU_DEP_3) | instskip(NEXT) | instid1(VALU_DEP_2)
	v_lshl_or_b32 v2, v21, 3, v2
	v_cmp_eq_u64_e32 vcc_lo, 0, v[19:20]
	s_delay_alu instid0(VALU_DEP_2)
	v_and_or_b32 v2, v19, 7, v2
	s_and_b32 s0, s0, vcc_lo
	s_delay_alu instid0(VALU_DEP_1) | instid1(SALU_CYCLE_1)
	v_cndmask_b32_e64 v19, v2, 0, s0
.LBB1_203:                              ;   in Loop: Header=BB1_145 Depth=2
	s_or_b32 exec_lo, exec_lo, s31
.LBB1_204:                              ;   in Loop: Header=BB1_145 Depth=2
	s_and_not1_saveexec_b32 s0, s30
	s_delay_alu instid0(SALU_CYCLE_1)
	s_or_b32 exec_lo, exec_lo, s0
.LBB1_205:                              ;   in Loop: Header=BB1_145 Depth=2
	s_and_not1_saveexec_b32 s0, s29
	s_delay_alu instid0(SALU_CYCLE_1) | instskip(SKIP_2) | instid1(VALU_DEP_1)
	s_or_b32 exec_lo, exec_lo, s0
	v_and_b32_e32 v2, 0xffff0000, v3
	s_mov_b32 s0, exec_lo
	v_div_scale_f32 v3, null, s10, s10, v2
	s_delay_alu instid0(VALU_DEP_1) | instskip(SKIP_2) | instid1(VALU_DEP_1)
	v_rcp_f32_e32 v5, v3
	s_waitcnt_depctr 0xfff
	v_fma_f32 v20, -v3, v5, 1.0
	v_fmac_f32_e32 v5, v20, v5
	v_div_scale_f32 v20, vcc_lo, v2, s10, v2
	s_delay_alu instid0(VALU_DEP_1) | instskip(NEXT) | instid1(VALU_DEP_1)
	v_mul_f32_e32 v21, v20, v5
	v_fma_f32 v22, -v3, v21, v20
	s_delay_alu instid0(VALU_DEP_1) | instskip(NEXT) | instid1(VALU_DEP_1)
	v_fmac_f32_e32 v21, v22, v5
	v_fma_f32 v3, -v3, v21, v20
	s_delay_alu instid0(VALU_DEP_1) | instskip(NEXT) | instid1(VALU_DEP_1)
	v_div_fmas_f32 v3, v3, v5, v21
	v_div_fixup_f32 v20, v3, s10, v2
	s_delay_alu instid0(VALU_DEP_1) | instskip(SKIP_1) | instid1(VALU_DEP_2)
	v_lshrrev_b32_e32 v22, 24, v20
	v_and_b32_e32 v5, 0x7f800000, v20
	v_or_b32_e32 v2, 0x7f, v22
	s_delay_alu instid0(VALU_DEP_2)
	v_cmpx_ne_u64_e32 0x7f800000, v[5:6]
	s_xor_b32 s29, exec_lo, s0
	s_cbranch_execz .LBB1_217
; %bb.206:                              ;   in Loop: Header=BB1_145 Depth=2
	v_and_b32_e32 v5, 0x7fffffff, v20
	s_mov_b32 s0, exec_lo
	s_delay_alu instid0(VALU_DEP_1)
	v_cmpx_gt_u64_e32 0x43700001, v[5:6]
	s_xor_b32 s30, exec_lo, s0
	s_cbranch_execz .LBB1_216
; %bb.207:                              ;   in Loop: Header=BB1_145 Depth=2
	s_mov_b32 s31, exec_lo
	v_mov_b32_e32 v2, 0
	v_mov_b32_e32 v3, 0
	v_cmpx_ne_u32_e32 0, v20
	s_cbranch_execz .LBB1_215
; %bb.208:                              ;   in Loop: Header=BB1_145 Depth=2
	v_bfe_u32 v23, v20, 23, 8
	v_and_b32_e32 v5, 0x7fffff, v20
	s_delay_alu instid0(VALU_DEP_2) | instskip(SKIP_1) | instid1(VALU_DEP_3)
	v_sub_nc_u32_e32 v2, 0x78, v23
	v_cmp_gt_u32_e32 vcc_lo, 0x79, v23
	v_or_b32_e32 v20, 0x800000, v5
	s_delay_alu instid0(VALU_DEP_3) | instskip(SKIP_1) | instid1(VALU_DEP_2)
	v_cndmask_b32_e32 v2, 0, v2, vcc_lo
	v_cmp_eq_u32_e32 vcc_lo, 0, v23
	v_cndmask_b32_e64 v24, v2, 0x77, vcc_lo
	s_delay_alu instid0(VALU_DEP_1) | instskip(NEXT) | instid1(VALU_DEP_1)
	v_dual_cndmask_b32 v5, v20, v5 :: v_dual_add_nc_u32 v2, 20, v24
	v_lshlrev_b64 v[2:3], v2, -1
	v_add_nc_u32_e32 v3, 19, v24
	s_delay_alu instid0(VALU_DEP_2) | instskip(NEXT) | instid1(VALU_DEP_2)
	v_not_b32_e32 v2, v2
	v_lshlrev_b64 v[29:30], v3, 1
	s_delay_alu instid0(VALU_DEP_2) | instskip(SKIP_1) | instid1(VALU_DEP_2)
	v_dual_mov_b32 v21, v6 :: v_dual_and_b32 v20, v5, v2
	v_lshrrev_b64 v[2:3], v24, v[5:6]
	v_cmp_eq_u64_e64 s0, v[20:21], v[29:30]
	s_delay_alu instid0(VALU_DEP_2) | instskip(NEXT) | instid1(VALU_DEP_2)
	v_dual_mov_b32 v21, v3 :: v_dual_mov_b32 v20, v2
	s_and_saveexec_b32 s33, s0
; %bb.209:                              ;   in Loop: Header=BB1_145 Depth=2
	v_bfe_u32 v5, v2, 20, 1
	s_delay_alu instid0(VALU_DEP_1) | instskip(NEXT) | instid1(VALU_DEP_1)
	v_add_co_u32 v5, s0, v2, v5
	v_add_co_u32 v20, s0, v5, -1
; %bb.210:                              ;   in Loop: Header=BB1_145 Depth=2
	s_or_b32 exec_lo, exec_lo, s33
	v_add_nc_u32_e32 v5, 0xffffff81, v23
	v_lshrrev_b32_e32 v21, 23, v2
	s_mov_b32 s0, exec_lo
	s_delay_alu instid0(VALU_DEP_2) | instskip(NEXT) | instid1(VALU_DEP_1)
	v_cndmask_b32_e64 v5, v5, 0xffffff82, vcc_lo
	v_add3_u32 v21, v24, v5, v21
	v_and_b32_e32 v5, 0xfffff, v20
	s_delay_alu instid0(VALU_DEP_2) | instskip(NEXT) | instid1(VALU_DEP_2)
	v_add_nc_u32_e32 v20, 7, v21
	v_add_co_u32 v2, vcc_lo, v5, v2
	v_add_co_ci_u32_e32 v3, vcc_lo, 0, v3, vcc_lo
                                        ; implicit-def: $vgpr5
	s_delay_alu instid0(VALU_DEP_3)
	v_cmpx_ne_u32_e32 0, v20
	s_xor_b32 s0, exec_lo, s0
; %bb.211:                              ;   in Loop: Header=BB1_145 Depth=2
	s_delay_alu instid0(VALU_DEP_2) | instskip(SKIP_1) | instid1(VALU_DEP_1)
	v_cmp_lt_u64_e32 vcc_lo, 0xffffff, v[2:3]
	v_add_nc_u32_e32 v5, 8, v21
	v_cndmask_b32_e32 v5, v20, v5, vcc_lo
	v_cndmask_b32_e64 v20, 0, 1, vcc_lo
	s_delay_alu instid0(VALU_DEP_1)
	v_lshrrev_b64 v[2:3], v20, v[2:3]
; %bb.212:                              ;   in Loop: Header=BB1_145 Depth=2
	s_and_not1_saveexec_b32 s0, s0
; %bb.213:                              ;   in Loop: Header=BB1_145 Depth=2
	s_delay_alu instid0(VALU_DEP_1)
	v_bfe_u32 v5, v2, 23, 1
; %bb.214:                              ;   in Loop: Header=BB1_145 Depth=2
	s_or_b32 exec_lo, exec_lo, s0
	s_delay_alu instid0(VALU_DEP_2) | instskip(NEXT) | instid1(VALU_DEP_2)
	v_lshrrev_b64 v[2:3], 20, v[2:3]
	v_cmp_gt_i32_e32 vcc_lo, 16, v5
	v_and_b32_e32 v20, 0x80, v22
	v_min_i32_e32 v21, 15, v5
	v_cmp_eq_u32_e64 s0, 0, v5
	v_dual_cndmask_b32 v3, 0, v3 :: v_dual_cndmask_b32 v2, 7, v2
	s_delay_alu instid0(VALU_DEP_3) | instskip(NEXT) | instid1(VALU_DEP_2)
	v_lshl_or_b32 v20, v21, 3, v20
	v_cmp_eq_u64_e32 vcc_lo, 0, v[2:3]
	s_delay_alu instid0(VALU_DEP_2)
	v_and_or_b32 v2, v2, 7, v20
	s_and_b32 s0, s0, vcc_lo
	s_delay_alu instid0(VALU_DEP_1) | instid1(SALU_CYCLE_1)
	v_cndmask_b32_e64 v2, v2, 0, s0
.LBB1_215:                              ;   in Loop: Header=BB1_145 Depth=2
	s_or_b32 exec_lo, exec_lo, s31
.LBB1_216:                              ;   in Loop: Header=BB1_145 Depth=2
	s_and_not1_saveexec_b32 s0, s30
	s_delay_alu instid0(SALU_CYCLE_1)
	s_or_b32 exec_lo, exec_lo, s0
.LBB1_217:                              ;   in Loop: Header=BB1_145 Depth=2
	s_and_not1_saveexec_b32 s0, s29
	s_delay_alu instid0(SALU_CYCLE_1) | instskip(SKIP_2) | instid1(VALU_DEP_1)
	s_or_b32 exec_lo, exec_lo, s0
	v_lshlrev_b32_e32 v3, 16, v4
	s_mov_b32 s0, exec_lo
	v_div_scale_f32 v5, null, s10, s10, v3
	s_delay_alu instid0(VALU_DEP_1) | instskip(SKIP_2) | instid1(VALU_DEP_1)
	v_rcp_f32_e32 v20, v5
	s_waitcnt_depctr 0xfff
	v_fma_f32 v21, -v5, v20, 1.0
	v_fmac_f32_e32 v20, v21, v20
	v_div_scale_f32 v21, vcc_lo, v3, s10, v3
	s_delay_alu instid0(VALU_DEP_1) | instskip(NEXT) | instid1(VALU_DEP_1)
	v_mul_f32_e32 v22, v21, v20
	v_fma_f32 v23, -v5, v22, v21
	s_delay_alu instid0(VALU_DEP_1) | instskip(NEXT) | instid1(VALU_DEP_1)
	v_fmac_f32_e32 v22, v23, v20
	v_fma_f32 v5, -v5, v22, v21
	s_delay_alu instid0(VALU_DEP_1) | instskip(NEXT) | instid1(VALU_DEP_1)
	v_div_fmas_f32 v5, v5, v20, v22
	v_div_fixup_f32 v22, v5, s10, v3
	s_delay_alu instid0(VALU_DEP_1) | instskip(SKIP_1) | instid1(VALU_DEP_1)
	v_and_b32_e32 v5, 0x7f800000, v22
	v_lshrrev_b32_e32 v3, 24, v22
	v_or_b32_e32 v20, 0x7f, v3
	s_delay_alu instid0(VALU_DEP_3)
	v_cmpx_ne_u64_e32 0x7f800000, v[5:6]
	s_xor_b32 s29, exec_lo, s0
	s_cbranch_execz .LBB1_229
; %bb.218:                              ;   in Loop: Header=BB1_145 Depth=2
	v_and_b32_e32 v5, 0x7fffffff, v22
	s_mov_b32 s0, exec_lo
	s_delay_alu instid0(VALU_DEP_1)
	v_cmpx_gt_u64_e32 0x43700001, v[5:6]
	s_xor_b32 s30, exec_lo, s0
	s_cbranch_execz .LBB1_228
; %bb.219:                              ;   in Loop: Header=BB1_145 Depth=2
	s_mov_b32 s31, exec_lo
	v_mov_b32_e32 v20, 0
	v_mov_b32_e32 v21, 0
	v_cmpx_ne_u32_e32 0, v22
	s_cbranch_execz .LBB1_227
; %bb.220:                              ;   in Loop: Header=BB1_145 Depth=2
	v_bfe_u32 v24, v22, 23, 8
	v_mov_b32_e32 v23, v6
	s_delay_alu instid0(VALU_DEP_2) | instskip(SKIP_1) | instid1(VALU_DEP_2)
	v_sub_nc_u32_e32 v5, 0x78, v24
	v_cmp_gt_u32_e32 vcc_lo, 0x79, v24
	v_cndmask_b32_e32 v5, 0, v5, vcc_lo
	v_cmp_eq_u32_e32 vcc_lo, 0, v24
	s_delay_alu instid0(VALU_DEP_2) | instskip(SKIP_1) | instid1(VALU_DEP_2)
	v_cndmask_b32_e64 v25, v5, 0x77, vcc_lo
	v_and_b32_e32 v5, 0x7fffff, v22
	v_add_nc_u32_e32 v20, 20, v25
	s_delay_alu instid0(VALU_DEP_2) | instskip(NEXT) | instid1(VALU_DEP_2)
	v_or_b32_e32 v22, 0x800000, v5
	v_lshlrev_b64 v[20:21], v20, -1
	s_delay_alu instid0(VALU_DEP_2) | instskip(SKIP_1) | instid1(VALU_DEP_3)
	v_cndmask_b32_e32 v5, v22, v5, vcc_lo
	v_add_nc_u32_e32 v21, 19, v25
	v_not_b32_e32 v20, v20
	s_delay_alu instid0(VALU_DEP_2) | instskip(NEXT) | instid1(VALU_DEP_2)
	v_lshlrev_b64 v[29:30], v21, 1
	v_and_b32_e32 v22, v5, v20
	v_lshrrev_b64 v[20:21], v25, v[5:6]
	s_delay_alu instid0(VALU_DEP_2) | instskip(NEXT) | instid1(VALU_DEP_2)
	v_cmp_eq_u64_e64 s0, v[22:23], v[29:30]
	v_dual_mov_b32 v23, v21 :: v_dual_mov_b32 v22, v20
	s_delay_alu instid0(VALU_DEP_2)
	s_and_saveexec_b32 s33, s0
; %bb.221:                              ;   in Loop: Header=BB1_145 Depth=2
	v_bfe_u32 v5, v20, 20, 1
	s_delay_alu instid0(VALU_DEP_1) | instskip(NEXT) | instid1(VALU_DEP_1)
	v_add_co_u32 v5, s0, v20, v5
	v_add_co_u32 v22, s0, v5, -1
; %bb.222:                              ;   in Loop: Header=BB1_145 Depth=2
	s_or_b32 exec_lo, exec_lo, s33
	v_add_nc_u32_e32 v5, 0xffffff81, v24
	v_lshrrev_b32_e32 v23, 23, v20
	s_mov_b32 s0, exec_lo
	s_delay_alu instid0(VALU_DEP_2) | instskip(NEXT) | instid1(VALU_DEP_1)
	v_cndmask_b32_e64 v5, v5, 0xffffff82, vcc_lo
	v_add3_u32 v23, v25, v5, v23
	v_and_b32_e32 v5, 0xfffff, v22
	s_delay_alu instid0(VALU_DEP_2) | instskip(NEXT) | instid1(VALU_DEP_2)
	v_add_nc_u32_e32 v22, 7, v23
	v_add_co_u32 v20, vcc_lo, v5, v20
	v_add_co_ci_u32_e32 v21, vcc_lo, 0, v21, vcc_lo
                                        ; implicit-def: $vgpr5
	s_delay_alu instid0(VALU_DEP_3)
	v_cmpx_ne_u32_e32 0, v22
	s_xor_b32 s0, exec_lo, s0
; %bb.223:                              ;   in Loop: Header=BB1_145 Depth=2
	s_delay_alu instid0(VALU_DEP_2) | instskip(SKIP_1) | instid1(VALU_DEP_1)
	v_cmp_lt_u64_e32 vcc_lo, 0xffffff, v[20:21]
	v_add_nc_u32_e32 v5, 8, v23
	v_cndmask_b32_e32 v5, v22, v5, vcc_lo
	v_cndmask_b32_e64 v22, 0, 1, vcc_lo
	s_delay_alu instid0(VALU_DEP_1)
	v_lshrrev_b64 v[20:21], v22, v[20:21]
; %bb.224:                              ;   in Loop: Header=BB1_145 Depth=2
	s_and_not1_saveexec_b32 s0, s0
; %bb.225:                              ;   in Loop: Header=BB1_145 Depth=2
	s_delay_alu instid0(VALU_DEP_1)
	v_bfe_u32 v5, v20, 23, 1
; %bb.226:                              ;   in Loop: Header=BB1_145 Depth=2
	s_or_b32 exec_lo, exec_lo, s0
	s_delay_alu instid0(VALU_DEP_2) | instskip(NEXT) | instid1(VALU_DEP_2)
	v_lshrrev_b64 v[20:21], 20, v[20:21]
	v_cmp_gt_i32_e32 vcc_lo, 16, v5
	v_and_b32_e32 v3, 0x80, v3
	v_min_i32_e32 v22, 15, v5
	v_cmp_eq_u32_e64 s0, 0, v5
	v_dual_cndmask_b32 v20, 7, v20 :: v_dual_cndmask_b32 v21, 0, v21
	s_delay_alu instid0(VALU_DEP_3) | instskip(NEXT) | instid1(VALU_DEP_2)
	v_lshl_or_b32 v3, v22, 3, v3
	v_cmp_eq_u64_e32 vcc_lo, 0, v[20:21]
	s_delay_alu instid0(VALU_DEP_2)
	v_and_or_b32 v3, v20, 7, v3
	s_and_b32 s0, s0, vcc_lo
	s_delay_alu instid0(VALU_DEP_1) | instid1(SALU_CYCLE_1)
	v_cndmask_b32_e64 v20, v3, 0, s0
.LBB1_227:                              ;   in Loop: Header=BB1_145 Depth=2
	s_or_b32 exec_lo, exec_lo, s31
.LBB1_228:                              ;   in Loop: Header=BB1_145 Depth=2
	s_and_not1_saveexec_b32 s0, s30
	s_delay_alu instid0(SALU_CYCLE_1)
	s_or_b32 exec_lo, exec_lo, s0
.LBB1_229:                              ;   in Loop: Header=BB1_145 Depth=2
	s_and_not1_saveexec_b32 s0, s29
	s_delay_alu instid0(SALU_CYCLE_1) | instskip(SKIP_2) | instid1(VALU_DEP_1)
	s_or_b32 exec_lo, exec_lo, s0
	v_and_b32_e32 v3, 0xffff0000, v4
	s_mov_b32 s0, exec_lo
	v_div_scale_f32 v4, null, s10, s10, v3
	s_delay_alu instid0(VALU_DEP_1) | instskip(SKIP_2) | instid1(VALU_DEP_1)
	v_rcp_f32_e32 v5, v4
	s_waitcnt_depctr 0xfff
	v_fma_f32 v21, -v4, v5, 1.0
	v_fmac_f32_e32 v5, v21, v5
	v_div_scale_f32 v21, vcc_lo, v3, s10, v3
	s_delay_alu instid0(VALU_DEP_1) | instskip(NEXT) | instid1(VALU_DEP_1)
	v_mul_f32_e32 v22, v21, v5
	v_fma_f32 v23, -v4, v22, v21
	s_delay_alu instid0(VALU_DEP_1) | instskip(NEXT) | instid1(VALU_DEP_1)
	v_fmac_f32_e32 v22, v23, v5
	v_fma_f32 v4, -v4, v22, v21
	s_delay_alu instid0(VALU_DEP_1) | instskip(NEXT) | instid1(VALU_DEP_1)
	v_div_fmas_f32 v4, v4, v5, v22
	v_div_fixup_f32 v21, v4, s10, v3
	s_delay_alu instid0(VALU_DEP_1) | instskip(SKIP_1) | instid1(VALU_DEP_2)
	v_lshrrev_b32_e32 v23, 24, v21
	v_and_b32_e32 v5, 0x7f800000, v21
	v_or_b32_e32 v3, 0x7f, v23
	s_delay_alu instid0(VALU_DEP_2)
	v_cmpx_ne_u64_e32 0x7f800000, v[5:6]
	s_xor_b32 s29, exec_lo, s0
	s_cbranch_execz .LBB1_144
; %bb.230:                              ;   in Loop: Header=BB1_145 Depth=2
	v_and_b32_e32 v5, 0x7fffffff, v21
	s_mov_b32 s0, exec_lo
	s_delay_alu instid0(VALU_DEP_1)
	v_cmpx_gt_u64_e32 0x43700001, v[5:6]
	s_xor_b32 s30, exec_lo, s0
	s_cbranch_execz .LBB1_143
; %bb.231:                              ;   in Loop: Header=BB1_145 Depth=2
	s_mov_b32 s31, exec_lo
	v_mov_b32_e32 v3, 0
	v_mov_b32_e32 v4, 0
	v_cmpx_ne_u32_e32 0, v21
	s_cbranch_execz .LBB1_142
; %bb.232:                              ;   in Loop: Header=BB1_145 Depth=2
	v_bfe_u32 v24, v21, 23, 8
	v_dual_mov_b32 v22, v6 :: v_dual_and_b32 v5, 0x7fffff, v21
	s_delay_alu instid0(VALU_DEP_2) | instskip(SKIP_1) | instid1(VALU_DEP_3)
	v_sub_nc_u32_e32 v3, 0x78, v24
	v_cmp_gt_u32_e32 vcc_lo, 0x79, v24
	v_or_b32_e32 v21, 0x800000, v5
	s_delay_alu instid0(VALU_DEP_3) | instskip(SKIP_1) | instid1(VALU_DEP_2)
	v_cndmask_b32_e32 v3, 0, v3, vcc_lo
	v_cmp_eq_u32_e32 vcc_lo, 0, v24
	v_cndmask_b32_e64 v25, v3, 0x77, vcc_lo
	s_delay_alu instid0(VALU_DEP_4) | instskip(NEXT) | instid1(VALU_DEP_2)
	v_cndmask_b32_e32 v5, v21, v5, vcc_lo
	v_add_nc_u32_e32 v3, 20, v25
	s_delay_alu instid0(VALU_DEP_1) | instskip(SKIP_1) | instid1(VALU_DEP_2)
	v_lshlrev_b64 v[3:4], v3, -1
	v_add_nc_u32_e32 v4, 19, v25
	v_not_b32_e32 v3, v3
	s_delay_alu instid0(VALU_DEP_2) | instskip(NEXT) | instid1(VALU_DEP_2)
	v_lshlrev_b64 v[29:30], v4, 1
	v_and_b32_e32 v21, v5, v3
	v_lshrrev_b64 v[3:4], v25, v[5:6]
	s_delay_alu instid0(VALU_DEP_2) | instskip(NEXT) | instid1(VALU_DEP_2)
	v_cmp_eq_u64_e64 s0, v[21:22], v[29:30]
	v_dual_mov_b32 v22, v4 :: v_dual_mov_b32 v21, v3
	s_delay_alu instid0(VALU_DEP_2)
	s_and_saveexec_b32 s33, s0
; %bb.233:                              ;   in Loop: Header=BB1_145 Depth=2
	v_bfe_u32 v5, v3, 20, 1
	s_delay_alu instid0(VALU_DEP_1) | instskip(NEXT) | instid1(VALU_DEP_1)
	v_add_co_u32 v5, s0, v3, v5
	v_add_co_u32 v21, s0, v5, -1
; %bb.234:                              ;   in Loop: Header=BB1_145 Depth=2
	s_or_b32 exec_lo, exec_lo, s33
	v_add_nc_u32_e32 v5, 0xffffff81, v24
	v_lshrrev_b32_e32 v22, 23, v3
	s_mov_b32 s0, exec_lo
	s_delay_alu instid0(VALU_DEP_2) | instskip(NEXT) | instid1(VALU_DEP_1)
	v_cndmask_b32_e64 v5, v5, 0xffffff82, vcc_lo
	v_add3_u32 v22, v25, v5, v22
	v_and_b32_e32 v5, 0xfffff, v21
	s_delay_alu instid0(VALU_DEP_2) | instskip(NEXT) | instid1(VALU_DEP_2)
	v_add_nc_u32_e32 v21, 7, v22
	v_add_co_u32 v3, vcc_lo, v5, v3
	v_add_co_ci_u32_e32 v4, vcc_lo, 0, v4, vcc_lo
                                        ; implicit-def: $vgpr5
	s_delay_alu instid0(VALU_DEP_3)
	v_cmpx_ne_u32_e32 0, v21
	s_xor_b32 s0, exec_lo, s0
; %bb.235:                              ;   in Loop: Header=BB1_145 Depth=2
	s_delay_alu instid0(VALU_DEP_2) | instskip(SKIP_1) | instid1(VALU_DEP_1)
	v_cmp_lt_u64_e32 vcc_lo, 0xffffff, v[3:4]
	v_add_nc_u32_e32 v5, 8, v22
	v_cndmask_b32_e32 v5, v21, v5, vcc_lo
	v_cndmask_b32_e64 v21, 0, 1, vcc_lo
	s_delay_alu instid0(VALU_DEP_1)
	v_lshrrev_b64 v[3:4], v21, v[3:4]
; %bb.236:                              ;   in Loop: Header=BB1_145 Depth=2
	s_and_not1_saveexec_b32 s0, s0
	s_cbranch_execz .LBB1_141
; %bb.237:                              ;   in Loop: Header=BB1_145 Depth=2
	s_delay_alu instid0(VALU_DEP_1)
	v_bfe_u32 v5, v3, 23, 1
	s_branch .LBB1_141
.LBB1_238:                              ;   in Loop: Header=BB1_7 Depth=1
	s_or_b32 exec_lo, exec_lo, s17
	s_delay_alu instid0(SALU_CYCLE_1)
	s_and_not1_b32 vcc_lo, exec_lo, s19
	s_cbranch_vccnz .LBB1_6
; %bb.239:                              ;   in Loop: Header=BB1_7 Depth=1
	v_mul_lo_u32 v1, v11, s8
	v_add_co_u32 v2, vcc_lo, s15, v27
	v_add_co_ci_u32_e32 v3, vcc_lo, s18, v28, vcc_lo
	v_add_co_u32 v5, vcc_lo, s13, v9
	v_add_co_ci_u32_e32 v9, vcc_lo, s14, v10, vcc_lo
	v_ashrrev_i32_e32 v4, 31, v1
	v_add_co_u32 v10, vcc_lo, v2, v1
	s_mov_b32 s17, 0
	s_mov_b32 s25, s9
	s_delay_alu instid0(VALU_DEP_2) | instskip(SKIP_3) | instid1(VALU_DEP_4)
	v_add_co_ci_u32_e32 v3, vcc_lo, v3, v4, vcc_lo
	v_add_co_u32 v1, vcc_lo, v5, v7
	v_add_co_ci_u32_e32 v2, vcc_lo, v9, v8, vcc_lo
	v_add_co_u32 v9, vcc_lo, v10, s23
	v_add_co_ci_u32_e32 v10, vcc_lo, s28, v3, vcc_lo
	s_branch .LBB1_244
.LBB1_240:                              ;   in Loop: Header=BB1_244 Depth=2
	s_or_b32 exec_lo, exec_lo, s0
	s_delay_alu instid0(VALU_DEP_1) | instskip(NEXT) | instid1(VALU_DEP_2)
	v_lshrrev_b64 v[3:4], 20, v[3:4]
	v_cmp_gt_i32_e32 vcc_lo, 16, v5
	v_and_b32_e32 v7, 0x80, v11
	v_min_i32_e32 v8, 15, v5
	v_cmp_eq_u32_e64 s0, 0, v5
	v_dual_cndmask_b32 v4, 0, v4 :: v_dual_cndmask_b32 v3, 7, v3
	s_delay_alu instid0(VALU_DEP_3) | instskip(NEXT) | instid1(VALU_DEP_2)
	v_lshl_or_b32 v7, v8, 3, v7
	v_cmp_eq_u64_e32 vcc_lo, 0, v[3:4]
	s_delay_alu instid0(VALU_DEP_2)
	v_and_or_b32 v3, v3, 7, v7
	s_and_b32 s0, s0, vcc_lo
	s_delay_alu instid0(VALU_DEP_1) | instid1(SALU_CYCLE_1)
	v_cndmask_b32_e64 v3, v3, 0, s0
.LBB1_241:                              ;   in Loop: Header=BB1_244 Depth=2
	s_or_b32 exec_lo, exec_lo, s31
.LBB1_242:                              ;   in Loop: Header=BB1_244 Depth=2
	s_and_not1_saveexec_b32 s0, s30
	s_delay_alu instid0(SALU_CYCLE_1)
	s_or_b32 exec_lo, exec_lo, s0
.LBB1_243:                              ;   in Loop: Header=BB1_244 Depth=2
	s_and_not1_saveexec_b32 s0, s29
	s_delay_alu instid0(SALU_CYCLE_1)
	s_or_b32 exec_lo, exec_lo, s0
	s_ashr_i32 s0, s17, 31
	v_add_co_u32 v4, vcc_lo, v9, s17
	v_add_co_ci_u32_e32 v5, vcc_lo, s0, v10, vcc_lo
	v_add_co_u32 v1, vcc_lo, v1, 2
	v_add_co_ci_u32_e32 v2, vcc_lo, 0, v2, vcc_lo
	s_add_i32 s25, s25, -1
	s_add_i32 s17, s17, s8
	s_cmp_eq_u32 s25, 0
	global_store_b8 v[4:5], v3, off
	s_cbranch_scc1 .LBB1_6
.LBB1_244:                              ;   Parent Loop BB1_7 Depth=1
                                        ; =>  This Inner Loop Header: Depth=2
	global_load_u16 v3, v[1:2], off
	s_mov_b32 s0, exec_lo
	s_waitcnt vmcnt(0)
	v_lshlrev_b32_e32 v3, 16, v3
	s_delay_alu instid0(VALU_DEP_1) | instskip(NEXT) | instid1(VALU_DEP_1)
	v_div_scale_f32 v4, null, s11, s11, v3
	v_rcp_f32_e32 v5, v4
	s_waitcnt_depctr 0xfff
	v_fma_f32 v7, -v4, v5, 1.0
	s_delay_alu instid0(VALU_DEP_1) | instskip(SKIP_1) | instid1(VALU_DEP_1)
	v_fmac_f32_e32 v5, v7, v5
	v_div_scale_f32 v7, vcc_lo, v3, s11, v3
	v_mul_f32_e32 v8, v7, v5
	s_delay_alu instid0(VALU_DEP_1) | instskip(NEXT) | instid1(VALU_DEP_1)
	v_fma_f32 v11, -v4, v8, v7
	v_fmac_f32_e32 v8, v11, v5
	s_delay_alu instid0(VALU_DEP_1) | instskip(NEXT) | instid1(VALU_DEP_1)
	v_fma_f32 v4, -v4, v8, v7
	v_div_fmas_f32 v4, v4, v5, v8
	s_delay_alu instid0(VALU_DEP_1) | instskip(NEXT) | instid1(VALU_DEP_1)
	v_div_fixup_f32 v4, v4, s11, v3
	v_and_b32_e32 v5, 0x7f800000, v4
	v_lshrrev_b32_e32 v11, 24, v4
	s_delay_alu instid0(VALU_DEP_1) | instskip(NEXT) | instid1(VALU_DEP_3)
	v_or_b32_e32 v3, 0x7f, v11
	v_cmpx_ne_u64_e32 0x7f800000, v[5:6]
	s_xor_b32 s29, exec_lo, s0
	s_cbranch_execz .LBB1_243
; %bb.245:                              ;   in Loop: Header=BB1_244 Depth=2
	v_and_b32_e32 v5, 0x7fffffff, v4
	s_mov_b32 s0, exec_lo
	s_delay_alu instid0(VALU_DEP_1)
	v_cmpx_gt_u64_e32 0x43700001, v[5:6]
	s_xor_b32 s30, exec_lo, s0
	s_cbranch_execz .LBB1_242
; %bb.246:                              ;   in Loop: Header=BB1_244 Depth=2
	v_mov_b32_e32 v3, 0
	s_mov_b32 s31, exec_lo
	v_cmpx_ne_u32_e32 0, v4
	s_cbranch_execz .LBB1_241
; %bb.247:                              ;   in Loop: Header=BB1_244 Depth=2
	v_bfe_u32 v12, v4, 23, 8
	v_dual_mov_b32 v8, v6 :: v_dual_and_b32 v5, 0x7fffff, v4
	s_delay_alu instid0(VALU_DEP_2) | instskip(SKIP_1) | instid1(VALU_DEP_3)
	v_sub_nc_u32_e32 v3, 0x78, v12
	v_cmp_gt_u32_e32 vcc_lo, 0x79, v12
	v_or_b32_e32 v7, 0x800000, v5
	s_delay_alu instid0(VALU_DEP_3) | instskip(SKIP_1) | instid1(VALU_DEP_2)
	v_cndmask_b32_e32 v3, 0, v3, vcc_lo
	v_cmp_eq_u32_e32 vcc_lo, 0, v12
	v_cndmask_b32_e64 v13, v3, 0x77, vcc_lo
	s_delay_alu instid0(VALU_DEP_4) | instskip(NEXT) | instid1(VALU_DEP_2)
	v_cndmask_b32_e32 v5, v7, v5, vcc_lo
	v_add_nc_u32_e32 v3, 20, v13
	s_delay_alu instid0(VALU_DEP_1) | instskip(SKIP_1) | instid1(VALU_DEP_2)
	v_lshlrev_b64 v[3:4], v3, -1
	v_add_nc_u32_e32 v4, 19, v13
	v_not_b32_e32 v3, v3
	s_delay_alu instid0(VALU_DEP_2) | instskip(NEXT) | instid1(VALU_DEP_2)
	v_lshlrev_b64 v[14:15], v4, 1
	v_and_b32_e32 v7, v5, v3
	v_lshrrev_b64 v[3:4], v13, v[5:6]
	s_delay_alu instid0(VALU_DEP_2) | instskip(NEXT) | instid1(VALU_DEP_2)
	v_cmp_eq_u64_e64 s0, v[7:8], v[14:15]
	v_dual_mov_b32 v8, v4 :: v_dual_mov_b32 v7, v3
	s_delay_alu instid0(VALU_DEP_2)
	s_and_saveexec_b32 s33, s0
; %bb.248:                              ;   in Loop: Header=BB1_244 Depth=2
	v_bfe_u32 v5, v3, 20, 1
	s_delay_alu instid0(VALU_DEP_1) | instskip(NEXT) | instid1(VALU_DEP_1)
	v_add_co_u32 v5, s0, v3, v5
	v_add_co_u32 v7, s0, v5, -1
; %bb.249:                              ;   in Loop: Header=BB1_244 Depth=2
	s_or_b32 exec_lo, exec_lo, s33
	v_add_nc_u32_e32 v5, 0xffffff81, v12
	v_lshrrev_b32_e32 v8, 23, v3
	s_mov_b32 s0, exec_lo
	s_delay_alu instid0(VALU_DEP_2) | instskip(NEXT) | instid1(VALU_DEP_1)
	v_cndmask_b32_e64 v5, v5, 0xffffff82, vcc_lo
	v_add3_u32 v8, v13, v5, v8
	v_and_b32_e32 v5, 0xfffff, v7
	s_delay_alu instid0(VALU_DEP_2) | instskip(NEXT) | instid1(VALU_DEP_2)
	v_add_nc_u32_e32 v7, 7, v8
	v_add_co_u32 v3, vcc_lo, v5, v3
	v_add_co_ci_u32_e32 v4, vcc_lo, 0, v4, vcc_lo
                                        ; implicit-def: $vgpr5
	s_delay_alu instid0(VALU_DEP_3)
	v_cmpx_ne_u32_e32 0, v7
	s_xor_b32 s0, exec_lo, s0
; %bb.250:                              ;   in Loop: Header=BB1_244 Depth=2
	s_delay_alu instid0(VALU_DEP_2) | instskip(SKIP_1) | instid1(VALU_DEP_1)
	v_cmp_lt_u64_e32 vcc_lo, 0xffffff, v[3:4]
	v_add_nc_u32_e32 v5, 8, v8
	v_cndmask_b32_e32 v5, v7, v5, vcc_lo
	v_cndmask_b32_e64 v7, 0, 1, vcc_lo
	s_delay_alu instid0(VALU_DEP_1)
	v_lshrrev_b64 v[3:4], v7, v[3:4]
; %bb.251:                              ;   in Loop: Header=BB1_244 Depth=2
	s_and_not1_saveexec_b32 s0, s0
	s_cbranch_execz .LBB1_240
; %bb.252:                              ;   in Loop: Header=BB1_244 Depth=2
	s_delay_alu instid0(VALU_DEP_1)
	v_bfe_u32 v5, v3, 23, 1
	s_branch .LBB1_240
.LBB1_253:
	s_nop 0
	s_sendmsg sendmsg(MSG_DEALLOC_VGPRS)
	s_endpgm
.LBB1_254:
                                        ; implicit-def: $sgpr24_sgpr25
	s_branch .LBB1_3
	.section	.rodata,"a",@progbits
	.p2align	6, 0x0
	.amdhsa_kernel _Z24reshape_and_cache_kernelI14__hip_bfloat16hL18Fp8KVCacheDataType1EEvPKT_S4_PT0_S6_PKliiiiiiff
		.amdhsa_group_segment_fixed_size 0
		.amdhsa_private_segment_fixed_size 0
		.amdhsa_kernarg_size 328
		.amdhsa_user_sgpr_count 15
		.amdhsa_user_sgpr_dispatch_ptr 0
		.amdhsa_user_sgpr_queue_ptr 0
		.amdhsa_user_sgpr_kernarg_segment_ptr 1
		.amdhsa_user_sgpr_dispatch_id 0
		.amdhsa_user_sgpr_private_segment_size 0
		.amdhsa_wavefront_size32 1
		.amdhsa_uses_dynamic_stack 0
		.amdhsa_enable_private_segment 0
		.amdhsa_system_sgpr_workgroup_id_x 1
		.amdhsa_system_sgpr_workgroup_id_y 0
		.amdhsa_system_sgpr_workgroup_id_z 0
		.amdhsa_system_sgpr_workgroup_info 0
		.amdhsa_system_vgpr_workitem_id 0
		.amdhsa_next_free_vgpr 38
		.amdhsa_next_free_sgpr 37
		.amdhsa_reserve_vcc 1
		.amdhsa_float_round_mode_32 0
		.amdhsa_float_round_mode_16_64 0
		.amdhsa_float_denorm_mode_32 3
		.amdhsa_float_denorm_mode_16_64 3
		.amdhsa_dx10_clamp 1
		.amdhsa_ieee_mode 1
		.amdhsa_fp16_overflow 0
		.amdhsa_workgroup_processor_mode 1
		.amdhsa_memory_ordered 1
		.amdhsa_forward_progress 0
		.amdhsa_shared_vgpr_count 0
		.amdhsa_exception_fp_ieee_invalid_op 0
		.amdhsa_exception_fp_denorm_src 0
		.amdhsa_exception_fp_ieee_div_zero 0
		.amdhsa_exception_fp_ieee_overflow 0
		.amdhsa_exception_fp_ieee_underflow 0
		.amdhsa_exception_fp_ieee_inexact 0
		.amdhsa_exception_int_div_zero 0
	.end_amdhsa_kernel
	.section	.text._Z24reshape_and_cache_kernelI14__hip_bfloat16hL18Fp8KVCacheDataType1EEvPKT_S4_PT0_S6_PKliiiiiiff,"axG",@progbits,_Z24reshape_and_cache_kernelI14__hip_bfloat16hL18Fp8KVCacheDataType1EEvPKT_S4_PT0_S6_PKliiiiiiff,comdat
.Lfunc_end1:
	.size	_Z24reshape_and_cache_kernelI14__hip_bfloat16hL18Fp8KVCacheDataType1EEvPKT_S4_PT0_S6_PKliiiiiiff, .Lfunc_end1-_Z24reshape_and_cache_kernelI14__hip_bfloat16hL18Fp8KVCacheDataType1EEvPKT_S4_PT0_S6_PKliiiiiiff
                                        ; -- End function
	.section	.AMDGPU.csdata,"",@progbits
; Kernel info:
; codeLenInByte = 14968
; NumSgprs: 39
; NumVgprs: 38
; ScratchSize: 0
; MemoryBound: 0
; FloatMode: 240
; IeeeMode: 1
; LDSByteSize: 0 bytes/workgroup (compile time only)
; SGPRBlocks: 4
; VGPRBlocks: 4
; NumSGPRsForWavesPerEU: 39
; NumVGPRsForWavesPerEU: 38
; Occupancy: 16
; WaveLimiterHint : 0
; COMPUTE_PGM_RSRC2:SCRATCH_EN: 0
; COMPUTE_PGM_RSRC2:USER_SGPR: 15
; COMPUTE_PGM_RSRC2:TRAP_HANDLER: 0
; COMPUTE_PGM_RSRC2:TGID_X_EN: 1
; COMPUTE_PGM_RSRC2:TGID_Y_EN: 0
; COMPUTE_PGM_RSRC2:TGID_Z_EN: 0
; COMPUTE_PGM_RSRC2:TIDIG_COMP_CNT: 0
	.text
	.p2alignl 7, 3214868480
	.fill 96, 4, 3214868480
	.type	__hip_cuid_f6a211820173f377,@object ; @__hip_cuid_f6a211820173f377
	.section	.bss,"aw",@nobits
	.globl	__hip_cuid_f6a211820173f377
__hip_cuid_f6a211820173f377:
	.byte	0                               ; 0x0
	.size	__hip_cuid_f6a211820173f377, 1

	.ident	"AMD clang version 19.0.0git (https://github.com/RadeonOpenCompute/llvm-project roc-6.4.0 25133 c7fe45cf4b819c5991fe208aaa96edf142730f1d)"
	.section	".note.GNU-stack","",@progbits
	.addrsig
	.addrsig_sym __hip_cuid_f6a211820173f377
	.amdgpu_metadata
---
amdhsa.kernels:
  - .args:
      - .address_space:  global
        .offset:         0
        .size:           8
        .value_kind:     global_buffer
      - .actual_access:  read_only
        .address_space:  global
        .offset:         8
        .size:           8
        .value_kind:     global_buffer
      - .actual_access:  write_only
        .address_space:  global
        .offset:         16
        .size:           8
        .value_kind:     global_buffer
      - .actual_access:  write_only
        .address_space:  global
        .offset:         24
        .size:           8
        .value_kind:     global_buffer
      - .actual_access:  read_only
        .address_space:  global
        .offset:         32
        .size:           8
        .value_kind:     global_buffer
      - .offset:         40
        .size:           4
        .value_kind:     by_value
      - .offset:         44
        .size:           4
        .value_kind:     by_value
      - .offset:         48
        .size:           4
        .value_kind:     by_value
      - .offset:         52
        .size:           4
        .value_kind:     by_value
      - .offset:         56
        .size:           4
        .value_kind:     by_value
      - .offset:         60
        .size:           4
        .value_kind:     by_value
      - .offset:         64
        .size:           4
        .value_kind:     by_value
      - .offset:         68
        .size:           4
        .value_kind:     by_value
      - .offset:         72
        .size:           4
        .value_kind:     hidden_block_count_x
      - .offset:         76
        .size:           4
        .value_kind:     hidden_block_count_y
      - .offset:         80
        .size:           4
        .value_kind:     hidden_block_count_z
      - .offset:         84
        .size:           2
        .value_kind:     hidden_group_size_x
      - .offset:         86
        .size:           2
        .value_kind:     hidden_group_size_y
      - .offset:         88
        .size:           2
        .value_kind:     hidden_group_size_z
      - .offset:         90
        .size:           2
        .value_kind:     hidden_remainder_x
      - .offset:         92
        .size:           2
        .value_kind:     hidden_remainder_y
      - .offset:         94
        .size:           2
        .value_kind:     hidden_remainder_z
      - .offset:         112
        .size:           8
        .value_kind:     hidden_global_offset_x
      - .offset:         120
        .size:           8
        .value_kind:     hidden_global_offset_y
      - .offset:         128
        .size:           8
        .value_kind:     hidden_global_offset_z
      - .offset:         136
        .size:           2
        .value_kind:     hidden_grid_dims
    .group_segment_fixed_size: 0
    .kernarg_segment_align: 8
    .kernarg_segment_size: 328
    .language:       OpenCL C
    .language_version:
      - 2
      - 0
    .max_flat_workgroup_size: 1024
    .name:           _Z24reshape_and_cache_kernelIfhL18Fp8KVCacheDataType1EEvPKT_S3_PT0_S5_PKliiiiiiff
    .private_segment_fixed_size: 0
    .sgpr_count:     39
    .sgpr_spill_count: 0
    .symbol:         _Z24reshape_and_cache_kernelIfhL18Fp8KVCacheDataType1EEvPKT_S3_PT0_S5_PKliiiiiiff.kd
    .uniform_work_group_size: 1
    .uses_dynamic_stack: false
    .vgpr_count:     34
    .vgpr_spill_count: 0
    .wavefront_size: 32
    .workgroup_processor_mode: 1
  - .args:
      - .address_space:  global
        .offset:         0
        .size:           8
        .value_kind:     global_buffer
      - .actual_access:  read_only
        .address_space:  global
        .offset:         8
        .size:           8
        .value_kind:     global_buffer
      - .actual_access:  write_only
        .address_space:  global
        .offset:         16
        .size:           8
        .value_kind:     global_buffer
      - .actual_access:  write_only
        .address_space:  global
        .offset:         24
        .size:           8
        .value_kind:     global_buffer
      - .actual_access:  read_only
        .address_space:  global
        .offset:         32
        .size:           8
        .value_kind:     global_buffer
      - .offset:         40
        .size:           4
        .value_kind:     by_value
      - .offset:         44
        .size:           4
        .value_kind:     by_value
      - .offset:         48
        .size:           4
        .value_kind:     by_value
      - .offset:         52
        .size:           4
        .value_kind:     by_value
      - .offset:         56
        .size:           4
        .value_kind:     by_value
      - .offset:         60
        .size:           4
        .value_kind:     by_value
      - .offset:         64
        .size:           4
        .value_kind:     by_value
      - .offset:         68
        .size:           4
        .value_kind:     by_value
      - .offset:         72
        .size:           4
        .value_kind:     hidden_block_count_x
      - .offset:         76
        .size:           4
        .value_kind:     hidden_block_count_y
      - .offset:         80
        .size:           4
        .value_kind:     hidden_block_count_z
      - .offset:         84
        .size:           2
        .value_kind:     hidden_group_size_x
      - .offset:         86
        .size:           2
        .value_kind:     hidden_group_size_y
      - .offset:         88
        .size:           2
        .value_kind:     hidden_group_size_z
      - .offset:         90
        .size:           2
        .value_kind:     hidden_remainder_x
      - .offset:         92
        .size:           2
        .value_kind:     hidden_remainder_y
      - .offset:         94
        .size:           2
        .value_kind:     hidden_remainder_z
      - .offset:         112
        .size:           8
        .value_kind:     hidden_global_offset_x
      - .offset:         120
        .size:           8
        .value_kind:     hidden_global_offset_y
      - .offset:         128
        .size:           8
        .value_kind:     hidden_global_offset_z
      - .offset:         136
        .size:           2
        .value_kind:     hidden_grid_dims
    .group_segment_fixed_size: 0
    .kernarg_segment_align: 8
    .kernarg_segment_size: 328
    .language:       OpenCL C
    .language_version:
      - 2
      - 0
    .max_flat_workgroup_size: 1024
    .name:           _Z24reshape_and_cache_kernelI14__hip_bfloat16hL18Fp8KVCacheDataType1EEvPKT_S4_PT0_S6_PKliiiiiiff
    .private_segment_fixed_size: 0
    .sgpr_count:     39
    .sgpr_spill_count: 0
    .symbol:         _Z24reshape_and_cache_kernelI14__hip_bfloat16hL18Fp8KVCacheDataType1EEvPKT_S4_PT0_S6_PKliiiiiiff.kd
    .uniform_work_group_size: 1
    .uses_dynamic_stack: false
    .vgpr_count:     38
    .vgpr_spill_count: 0
    .wavefront_size: 32
    .workgroup_processor_mode: 1
amdhsa.target:   amdgcn-amd-amdhsa--gfx1100
amdhsa.version:
  - 1
  - 2
...

	.end_amdgpu_metadata
